;; amdgpu-corpus repo=ggml-org/llama.cpp kind=compiled arch=gfx1100 opt=O3
	.text
	.amdgcn_target "amdgcn-amd-amdhsa--gfx1100"
	.amdhsa_code_object_version 6
	.section	.text._ZL10tri_kernelIfLb1ELi0EEvPKT_PS0_llllllllllll,"axG",@progbits,_ZL10tri_kernelIfLb1ELi0EEvPKT_PS0_llllllllllll,comdat
	.globl	_ZL10tri_kernelIfLb1ELi0EEvPKT_PS0_llllllllllll ; -- Begin function _ZL10tri_kernelIfLb1ELi0EEvPKT_PS0_llllllllllll
	.p2align	8
	.type	_ZL10tri_kernelIfLb1ELi0EEvPKT_PS0_llllllllllll,@function
_ZL10tri_kernelIfLb1ELi0EEvPKT_PS0_llllllllllll: ; @_ZL10tri_kernelIfLb1ELi0EEvPKT_PS0_llllllllllll
; %bb.0:
	s_clause 0x1
	s_load_b128 s[16:19], s[0:1], 0x20
	s_load_b256 s[4:11], s[0:1], 0x0
	s_mov_b32 s3, 0
	s_mov_b32 s2, s15
	s_mov_b32 s15, s3
	s_mov_b32 s12, s13
	s_mov_b32 s13, s3
	s_waitcnt lgkmcnt(0)
	v_cmp_ge_i64_e64 s3, s[2:3], s[18:19]
	v_cmp_ge_i64_e64 s15, s[14:15], s[16:17]
	;; [unrolled: 1-line block ×3, first 2 shown]
	s_delay_alu instid0(VALU_DEP_2)
	s_or_b32 s3, s15, s3
	s_delay_alu instid0(VALU_DEP_1) | instid1(SALU_CYCLE_1)
	s_or_b32 s3, s10, s3
	s_delay_alu instid0(SALU_CYCLE_1)
	s_and_b32 vcc_lo, exec_lo, s3
	s_cbranch_vccnz .LBB0_7
; %bb.1:
	s_clause 0x1
	s_load_b64 s[10:11], s[0:1], 0x68
	s_load_b128 s[16:19], s[0:1], 0x58
	v_mov_b32_e32 v1, 0
	s_mov_b32 s28, exec_lo
	s_waitcnt lgkmcnt(0)
	s_mul_i32 s25, s11, s2
	s_mul_hi_u32 s27, s10, s2
	s_mul_i32 s20, s10, s2
	s_mul_i32 s24, s19, s14
	s_mul_hi_u32 s26, s18, s14
	s_mul_i32 s22, s18, s14
	;; [unrolled: 3-line block ×3, first 2 shown]
	v_cmpx_gt_u32_e64 s12, v0
	s_cbranch_execz .LBB0_4
; %bb.2:
	s_clause 0x2
	s_load_b32 s11, s[0:1], 0x7c
	s_load_b64 s[30:31], s[0:1], 0x48
	s_load_b128 s[16:19], s[0:1], 0x38
	s_add_i32 s21, s27, s25
	s_add_i32 s23, s26, s24
	s_lshl_b64 s[34:35], s[20:21], 2
	s_lshl_b64 s[36:37], s[22:23], 2
	v_lshlrev_b32_e32 v2, 2, v0
	s_waitcnt lgkmcnt(0)
	s_and_b32 s21, s11, 0xffff
	s_mul_i32 s23, s31, s2
	s_mul_hi_u32 s29, s30, s2
	s_mul_i32 s30, s30, s2
	s_mul_i32 s2, s19, s14
	s_mul_hi_u32 s19, s18, s14
	s_mul_i32 s18, s18, s14
	s_mul_i32 s14, s17, s12
	s_add_u32 s17, s34, s36
	s_addc_u32 s31, s35, s37
	s_add_i32 s11, s15, s3
	s_mul_hi_u32 s33, s16, s12
	s_lshl_b64 s[34:35], s[10:11], 2
	s_mul_i32 s16, s16, s12
	s_add_u32 s11, s17, s34
	s_addc_u32 s17, s31, s35
	s_add_u32 s34, s6, s11
	s_addc_u32 s35, s7, s17
	s_add_i32 s31, s29, s23
	s_add_i32 s19, s19, s2
	s_lshl_b64 s[30:31], s[30:31], 2
	s_lshl_b64 s[18:19], s[18:19], 2
	s_lshl_b32 s11, s21, 2
	s_add_u32 s2, s30, s18
	s_addc_u32 s18, s31, s19
	s_add_i32 s17, s33, s14
	v_add_co_u32 v3, s14, s34, v2
	s_lshl_b64 s[16:17], s[16:17], 2
	v_add_co_ci_u32_e64 v4, null, s35, 0, s14
	s_add_u32 s2, s2, s16
	s_addc_u32 s14, s18, s17
	s_add_u32 s2, s4, s2
	s_addc_u32 s4, s5, s14
	v_add_co_u32 v5, s2, s2, v2
	v_mov_b32_e32 v2, v1
	v_mov_b32_e32 v1, v0
	v_add_co_ci_u32_e64 v6, null, s4, 0, s2
	s_mov_b32 s14, 0
	s_mov_b64 s[4:5], 0
	.p2align	6
.LBB0_3:                                ; =>This Inner Loop Header: Depth=1
	s_delay_alu instid0(SALU_CYCLE_1) | instskip(NEXT) | instid1(VALU_DEP_2)
	v_add_co_u32 v7, vcc_lo, v5, s4
	v_add_co_ci_u32_e32 v8, vcc_lo, s5, v6, vcc_lo
	v_add_co_u32 v1, vcc_lo, v1, s21
	v_add_co_ci_u32_e32 v2, vcc_lo, 0, v2, vcc_lo
	global_load_b32 v9, v[7:8], off
	v_add_co_u32 v7, s2, v3, s4
	v_cmp_le_u64_e32 vcc_lo, s[12:13], v[1:2]
	v_add_co_ci_u32_e64 v8, s2, s5, v4, s2
	s_add_u32 s4, s4, s11
	s_addc_u32 s5, s5, 0
	s_or_b32 s14, vcc_lo, s14
	s_waitcnt vmcnt(0)
	global_store_b32 v[7:8], v9, off
	s_and_not1_b32 exec_lo, exec_lo, s14
	s_cbranch_execnz .LBB0_3
.LBB0_4:
	s_or_b32 exec_lo, exec_lo, s28
	v_add_co_u32 v0, s2, v0, s12
	s_delay_alu instid0(VALU_DEP_1) | instskip(SKIP_1) | instid1(VALU_DEP_1)
	v_add_co_ci_u32_e64 v1, null, 0, 0, s2
	s_mov_b32 s2, exec_lo
	v_cmpx_gt_i64_e64 s[8:9], v[0:1]
	s_cbranch_execz .LBB0_7
; %bb.5:
	s_load_b32 s0, s[0:1], 0x7c
	s_add_i32 s21, s27, s25
	s_add_i32 s23, s26, s24
	s_lshl_b64 s[4:5], s[20:21], 2
	s_lshl_b64 s[12:13], s[22:23], 2
	v_lshlrev_b64 v[2:3], 2, v[0:1]
	v_mov_b32_e32 v4, 0
	s_waitcnt lgkmcnt(0)
	s_and_b32 s1, s0, 0xffff
	s_add_u32 s0, s4, s12
	s_addc_u32 s4, s5, s13
	s_add_i32 s11, s15, s3
	s_delay_alu instid0(SALU_CYCLE_1) | instskip(NEXT) | instid1(SALU_CYCLE_1)
	s_lshl_b64 s[2:3], s[10:11], 2
	s_add_u32 s0, s0, s2
	s_addc_u32 s2, s4, s3
	s_add_u32 s0, s6, s0
	s_addc_u32 s2, s7, s2
	v_add_co_u32 v2, vcc_lo, s0, v2
	v_add_co_ci_u32_e32 v3, vcc_lo, s2, v3, vcc_lo
	s_mov_b32 s2, 0
	s_lshl_b32 s3, s1, 2
.LBB0_6:                                ; =>This Inner Loop Header: Depth=1
	v_add_co_u32 v0, vcc_lo, v0, s1
	v_add_co_ci_u32_e32 v1, vcc_lo, 0, v1, vcc_lo
	global_store_b32 v[2:3], v4, off
	v_add_co_u32 v2, s0, v2, s3
	v_cmp_le_i64_e32 vcc_lo, s[8:9], v[0:1]
	v_add_co_ci_u32_e64 v3, s0, 0, v3, s0
	s_or_b32 s2, vcc_lo, s2
	s_delay_alu instid0(SALU_CYCLE_1)
	s_and_not1_b32 exec_lo, exec_lo, s2
	s_cbranch_execnz .LBB0_6
.LBB0_7:
	s_nop 0
	s_sendmsg sendmsg(MSG_DEALLOC_VGPRS)
	s_endpgm
	.section	.rodata,"a",@progbits
	.p2align	6, 0x0
	.amdhsa_kernel _ZL10tri_kernelIfLb1ELi0EEvPKT_PS0_llllllllllll
		.amdhsa_group_segment_fixed_size 0
		.amdhsa_private_segment_fixed_size 0
		.amdhsa_kernarg_size 368
		.amdhsa_user_sgpr_count 13
		.amdhsa_user_sgpr_dispatch_ptr 0
		.amdhsa_user_sgpr_queue_ptr 0
		.amdhsa_user_sgpr_kernarg_segment_ptr 1
		.amdhsa_user_sgpr_dispatch_id 0
		.amdhsa_user_sgpr_private_segment_size 0
		.amdhsa_wavefront_size32 1
		.amdhsa_uses_dynamic_stack 0
		.amdhsa_enable_private_segment 0
		.amdhsa_system_sgpr_workgroup_id_x 1
		.amdhsa_system_sgpr_workgroup_id_y 1
		.amdhsa_system_sgpr_workgroup_id_z 1
		.amdhsa_system_sgpr_workgroup_info 0
		.amdhsa_system_vgpr_workitem_id 0
		.amdhsa_next_free_vgpr 10
		.amdhsa_next_free_sgpr 38
		.amdhsa_reserve_vcc 1
		.amdhsa_float_round_mode_32 0
		.amdhsa_float_round_mode_16_64 0
		.amdhsa_float_denorm_mode_32 3
		.amdhsa_float_denorm_mode_16_64 3
		.amdhsa_dx10_clamp 1
		.amdhsa_ieee_mode 1
		.amdhsa_fp16_overflow 0
		.amdhsa_workgroup_processor_mode 1
		.amdhsa_memory_ordered 1
		.amdhsa_forward_progress 0
		.amdhsa_shared_vgpr_count 0
		.amdhsa_exception_fp_ieee_invalid_op 0
		.amdhsa_exception_fp_denorm_src 0
		.amdhsa_exception_fp_ieee_div_zero 0
		.amdhsa_exception_fp_ieee_overflow 0
		.amdhsa_exception_fp_ieee_underflow 0
		.amdhsa_exception_fp_ieee_inexact 0
		.amdhsa_exception_int_div_zero 0
	.end_amdhsa_kernel
	.section	.text._ZL10tri_kernelIfLb1ELi0EEvPKT_PS0_llllllllllll,"axG",@progbits,_ZL10tri_kernelIfLb1ELi0EEvPKT_PS0_llllllllllll,comdat
.Lfunc_end0:
	.size	_ZL10tri_kernelIfLb1ELi0EEvPKT_PS0_llllllllllll, .Lfunc_end0-_ZL10tri_kernelIfLb1ELi0EEvPKT_PS0_llllllllllll
                                        ; -- End function
	.section	.AMDGPU.csdata,"",@progbits
; Kernel info:
; codeLenInByte = 704
; NumSgprs: 40
; NumVgprs: 10
; ScratchSize: 0
; MemoryBound: 0
; FloatMode: 240
; IeeeMode: 1
; LDSByteSize: 0 bytes/workgroup (compile time only)
; SGPRBlocks: 4
; VGPRBlocks: 1
; NumSGPRsForWavesPerEU: 40
; NumVGPRsForWavesPerEU: 10
; Occupancy: 16
; WaveLimiterHint : 0
; COMPUTE_PGM_RSRC2:SCRATCH_EN: 0
; COMPUTE_PGM_RSRC2:USER_SGPR: 13
; COMPUTE_PGM_RSRC2:TRAP_HANDLER: 0
; COMPUTE_PGM_RSRC2:TGID_X_EN: 1
; COMPUTE_PGM_RSRC2:TGID_Y_EN: 1
; COMPUTE_PGM_RSRC2:TGID_Z_EN: 1
; COMPUTE_PGM_RSRC2:TIDIG_COMP_CNT: 0
	.section	.text._ZL10tri_kernelIfLb1ELi1EEvPKT_PS0_llllllllllll,"axG",@progbits,_ZL10tri_kernelIfLb1ELi1EEvPKT_PS0_llllllllllll,comdat
	.globl	_ZL10tri_kernelIfLb1ELi1EEvPKT_PS0_llllllllllll ; -- Begin function _ZL10tri_kernelIfLb1ELi1EEvPKT_PS0_llllllllllll
	.p2align	8
	.type	_ZL10tri_kernelIfLb1ELi1EEvPKT_PS0_llllllllllll,@function
_ZL10tri_kernelIfLb1ELi1EEvPKT_PS0_llllllllllll: ; @_ZL10tri_kernelIfLb1ELi1EEvPKT_PS0_llllllllllll
; %bb.0:
	s_clause 0x1
	s_load_b128 s[16:19], s[0:1], 0x20
	s_load_b256 s[4:11], s[0:1], 0x0
	s_mov_b32 s3, 0
	s_mov_b32 s2, s15
	;; [unrolled: 1-line block ×5, first 2 shown]
	s_waitcnt lgkmcnt(0)
	v_cmp_ge_i64_e64 s3, s[2:3], s[18:19]
	v_cmp_ge_i64_e64 s15, s[14:15], s[16:17]
	;; [unrolled: 1-line block ×3, first 2 shown]
	s_delay_alu instid0(VALU_DEP_2)
	s_or_b32 s3, s15, s3
	s_delay_alu instid0(VALU_DEP_1) | instid1(SALU_CYCLE_1)
	s_or_b32 s3, s10, s3
	s_delay_alu instid0(SALU_CYCLE_1)
	s_and_b32 vcc_lo, exec_lo, s3
	s_cbranch_vccnz .LBB1_7
; %bb.1:
	s_clause 0x1
	s_load_b128 s[16:19], s[0:1], 0x58
	s_load_b64 s[20:21], s[0:1], 0x68
	v_mov_b32_e32 v1, 0
	s_waitcnt lgkmcnt(0)
	s_mul_i32 s3, s14, s19
	s_mul_hi_u32 s11, s14, s18
	s_mul_i32 s10, s14, s18
	s_mul_i32 s15, s2, s21
	s_mul_hi_u32 s18, s2, s20
	s_add_i32 s11, s11, s3
	s_add_i32 s19, s18, s15
	s_mul_i32 s18, s2, s20
	s_mov_b32 s3, exec_lo
	v_cmpx_ge_u32_e64 s12, v0
	s_cbranch_execz .LBB1_4
; %bb.2:
	s_clause 0x2
	s_load_b32 s15, s[0:1], 0x7c
	s_load_b64 s[24:25], s[0:1], 0x48
	s_load_b128 s[20:23], s[0:1], 0x38
	s_lshl_b64 s[26:27], s[18:19], 2
	s_lshl_b64 s[28:29], s[10:11], 2
	s_mul_i32 s31, s17, s12
	s_mul_hi_u32 s33, s16, s12
	s_mul_i32 s30, s16, s12
	v_lshlrev_b32_e32 v2, 2, v0
	s_waitcnt lgkmcnt(0)
	s_and_b32 s15, s15, 0xffff
	s_mul_i32 s25, s25, s2
	s_mul_hi_u32 s34, s24, s2
	s_mul_i32 s24, s24, s2
	s_mul_i32 s2, s23, s14
	s_mul_hi_u32 s23, s22, s14
	s_mul_i32 s22, s22, s14
	s_add_u32 s14, s26, s28
	s_addc_u32 s28, s27, s29
	s_add_i32 s31, s33, s31
	s_mul_i32 s21, s21, s12
	s_lshl_b64 s[26:27], s[30:31], 2
	s_mul_hi_u32 s29, s20, s12
	s_add_u32 s14, s14, s26
	s_addc_u32 s26, s28, s27
	s_add_u32 s27, s6, s14
	s_addc_u32 s26, s7, s26
	s_add_i32 s25, s34, s25
	s_add_i32 s23, s23, s2
	s_lshl_b64 s[24:25], s[24:25], 2
	s_lshl_b64 s[22:23], s[22:23], 2
	s_lshl_b32 s14, s15, 2
	s_add_u32 s2, s24, s22
	s_mul_i32 s20, s20, s12
	s_addc_u32 s22, s25, s23
	s_add_i32 s21, s29, s21
	v_add_co_u32 v3, s23, s27, v2
	s_lshl_b64 s[20:21], s[20:21], 2
	v_add_co_ci_u32_e64 v4, null, s26, 0, s23
	s_add_u32 s2, s2, s20
	s_addc_u32 s20, s22, s21
	s_add_u32 s2, s4, s2
	s_addc_u32 s4, s5, s20
	v_add_co_u32 v5, s2, s2, v2
	v_mov_b32_e32 v2, v1
	v_mov_b32_e32 v1, v0
	v_add_co_ci_u32_e64 v6, null, s4, 0, s2
	s_mov_b32 s20, 0
	s_mov_b64 s[4:5], 0
	.p2align	6
.LBB1_3:                                ; =>This Inner Loop Header: Depth=1
	s_delay_alu instid0(SALU_CYCLE_1) | instskip(NEXT) | instid1(VALU_DEP_2)
	v_add_co_u32 v7, vcc_lo, v5, s4
	v_add_co_ci_u32_e32 v8, vcc_lo, s5, v6, vcc_lo
	v_add_co_u32 v1, vcc_lo, v1, s15
	v_add_co_ci_u32_e32 v2, vcc_lo, 0, v2, vcc_lo
	global_load_b32 v9, v[7:8], off
	v_add_co_u32 v7, s2, v3, s4
	v_cmp_lt_u64_e32 vcc_lo, s[12:13], v[1:2]
	v_add_co_ci_u32_e64 v8, s2, s5, v4, s2
	s_add_u32 s4, s4, s14
	s_addc_u32 s5, s5, 0
	s_or_b32 s20, vcc_lo, s20
	s_waitcnt vmcnt(0)
	global_store_b32 v[7:8], v9, off
	s_and_not1_b32 exec_lo, exec_lo, s20
	s_cbranch_execnz .LBB1_3
.LBB1_4:
	s_or_b32 exec_lo, exec_lo, s3
	s_add_u32 s2, s12, 1
	s_addc_u32 s3, 0, 0
	v_add_co_u32 v1, s2, s2, v0
	s_delay_alu instid0(VALU_DEP_1) | instskip(SKIP_1) | instid1(VALU_DEP_1)
	v_add_co_ci_u32_e64 v2, null, s3, 0, s2
	s_mov_b32 s2, exec_lo
	v_cmpx_gt_i64_e64 s[8:9], v[1:2]
	s_cbranch_execz .LBB1_7
; %bb.5:
	s_load_b32 s0, s[0:1], 0x7c
	s_waitcnt lgkmcnt(0)
	s_and_b32 s1, s0, 0xffff
	s_add_u32 s0, s18, s10
	s_addc_u32 s2, s19, s11
	s_add_u32 s3, s16, 1
	s_addc_u32 s4, s17, 0
	s_mul_hi_u32 s5, s3, s12
	s_mul_i32 s4, s4, s12
	s_mul_i32 s3, s3, s12
	s_add_i32 s5, s5, s4
	s_add_u32 s0, s0, s3
	s_addc_u32 s2, s2, s5
	v_add_co_u32 v3, s0, s0, v0
	s_delay_alu instid0(VALU_DEP_1) | instskip(SKIP_2) | instid1(VALU_DEP_1)
	v_add_co_ci_u32_e64 v4, null, s2, 0, s0
	s_mov_b32 s2, 0
	s_lshl_b32 s3, s1, 2
	v_lshlrev_b64 v[3:4], 2, v[3:4]
	s_delay_alu instid0(VALU_DEP_1) | instskip(NEXT) | instid1(VALU_DEP_2)
	v_add_co_u32 v0, vcc_lo, v3, s6
	v_add_co_ci_u32_e32 v4, vcc_lo, s7, v4, vcc_lo
	s_delay_alu instid0(VALU_DEP_2) | instskip(NEXT) | instid1(VALU_DEP_2)
	v_add_co_u32 v3, vcc_lo, v0, 4
	v_add_co_ci_u32_e32 v4, vcc_lo, 0, v4, vcc_lo
	v_mov_b32_e32 v0, 0
.LBB1_6:                                ; =>This Inner Loop Header: Depth=1
	v_add_co_u32 v1, vcc_lo, v1, s1
	v_add_co_ci_u32_e32 v2, vcc_lo, 0, v2, vcc_lo
	global_store_b32 v[3:4], v0, off
	v_add_co_u32 v3, s0, v3, s3
	v_cmp_le_i64_e32 vcc_lo, s[8:9], v[1:2]
	v_add_co_ci_u32_e64 v4, s0, 0, v4, s0
	s_or_b32 s2, vcc_lo, s2
	s_delay_alu instid0(SALU_CYCLE_1)
	s_and_not1_b32 exec_lo, exec_lo, s2
	s_cbranch_execnz .LBB1_6
.LBB1_7:
	s_nop 0
	s_sendmsg sendmsg(MSG_DEALLOC_VGPRS)
	s_endpgm
	.section	.rodata,"a",@progbits
	.p2align	6, 0x0
	.amdhsa_kernel _ZL10tri_kernelIfLb1ELi1EEvPKT_PS0_llllllllllll
		.amdhsa_group_segment_fixed_size 0
		.amdhsa_private_segment_fixed_size 0
		.amdhsa_kernarg_size 368
		.amdhsa_user_sgpr_count 13
		.amdhsa_user_sgpr_dispatch_ptr 0
		.amdhsa_user_sgpr_queue_ptr 0
		.amdhsa_user_sgpr_kernarg_segment_ptr 1
		.amdhsa_user_sgpr_dispatch_id 0
		.amdhsa_user_sgpr_private_segment_size 0
		.amdhsa_wavefront_size32 1
		.amdhsa_uses_dynamic_stack 0
		.amdhsa_enable_private_segment 0
		.amdhsa_system_sgpr_workgroup_id_x 1
		.amdhsa_system_sgpr_workgroup_id_y 1
		.amdhsa_system_sgpr_workgroup_id_z 1
		.amdhsa_system_sgpr_workgroup_info 0
		.amdhsa_system_vgpr_workitem_id 0
		.amdhsa_next_free_vgpr 10
		.amdhsa_next_free_sgpr 35
		.amdhsa_reserve_vcc 1
		.amdhsa_float_round_mode_32 0
		.amdhsa_float_round_mode_16_64 0
		.amdhsa_float_denorm_mode_32 3
		.amdhsa_float_denorm_mode_16_64 3
		.amdhsa_dx10_clamp 1
		.amdhsa_ieee_mode 1
		.amdhsa_fp16_overflow 0
		.amdhsa_workgroup_processor_mode 1
		.amdhsa_memory_ordered 1
		.amdhsa_forward_progress 0
		.amdhsa_shared_vgpr_count 0
		.amdhsa_exception_fp_ieee_invalid_op 0
		.amdhsa_exception_fp_denorm_src 0
		.amdhsa_exception_fp_ieee_div_zero 0
		.amdhsa_exception_fp_ieee_overflow 0
		.amdhsa_exception_fp_ieee_underflow 0
		.amdhsa_exception_fp_ieee_inexact 0
		.amdhsa_exception_int_div_zero 0
	.end_amdhsa_kernel
	.section	.text._ZL10tri_kernelIfLb1ELi1EEvPKT_PS0_llllllllllll,"axG",@progbits,_ZL10tri_kernelIfLb1ELi1EEvPKT_PS0_llllllllllll,comdat
.Lfunc_end1:
	.size	_ZL10tri_kernelIfLb1ELi1EEvPKT_PS0_llllllllllll, .Lfunc_end1-_ZL10tri_kernelIfLb1ELi1EEvPKT_PS0_llllllllllll
                                        ; -- End function
	.section	.AMDGPU.csdata,"",@progbits
; Kernel info:
; codeLenInByte = 740
; NumSgprs: 37
; NumVgprs: 10
; ScratchSize: 0
; MemoryBound: 0
; FloatMode: 240
; IeeeMode: 1
; LDSByteSize: 0 bytes/workgroup (compile time only)
; SGPRBlocks: 4
; VGPRBlocks: 1
; NumSGPRsForWavesPerEU: 37
; NumVGPRsForWavesPerEU: 10
; Occupancy: 16
; WaveLimiterHint : 0
; COMPUTE_PGM_RSRC2:SCRATCH_EN: 0
; COMPUTE_PGM_RSRC2:USER_SGPR: 13
; COMPUTE_PGM_RSRC2:TRAP_HANDLER: 0
; COMPUTE_PGM_RSRC2:TGID_X_EN: 1
; COMPUTE_PGM_RSRC2:TGID_Y_EN: 1
; COMPUTE_PGM_RSRC2:TGID_Z_EN: 1
; COMPUTE_PGM_RSRC2:TIDIG_COMP_CNT: 0
	.section	.text._ZL10tri_kernelIfLb0ELi0EEvPKT_PS0_llllllllllll,"axG",@progbits,_ZL10tri_kernelIfLb0ELi0EEvPKT_PS0_llllllllllll,comdat
	.globl	_ZL10tri_kernelIfLb0ELi0EEvPKT_PS0_llllllllllll ; -- Begin function _ZL10tri_kernelIfLb0ELi0EEvPKT_PS0_llllllllllll
	.p2align	8
	.type	_ZL10tri_kernelIfLb0ELi0EEvPKT_PS0_llllllllllll,@function
_ZL10tri_kernelIfLb0ELi0EEvPKT_PS0_llllllllllll: ; @_ZL10tri_kernelIfLb0ELi0EEvPKT_PS0_llllllllllll
; %bb.0:
	s_clause 0x1
	s_load_b128 s[16:19], s[0:1], 0x20
	s_load_b256 s[4:11], s[0:1], 0x0
	s_mov_b32 s21, 0
	s_mov_b32 s20, s15
	;; [unrolled: 1-line block ×5, first 2 shown]
	s_waitcnt lgkmcnt(0)
	v_cmp_ge_i64_e64 s2, s[20:21], s[18:19]
	v_cmp_ge_i64_e64 s3, s[14:15], s[16:17]
	;; [unrolled: 1-line block ×3, first 2 shown]
	s_delay_alu instid0(VALU_DEP_2)
	s_or_b32 s2, s3, s2
	s_delay_alu instid0(VALU_DEP_1) | instid1(SALU_CYCLE_1)
	s_or_b32 s2, s10, s2
	s_delay_alu instid0(SALU_CYCLE_1)
	s_and_b32 vcc_lo, exec_lo, s2
	s_cbranch_vccnz .LBB2_7
; %bb.1:
	s_clause 0x1
	s_load_b64 s[2:3], s[0:1], 0x68
	s_load_b128 s[16:19], s[0:1], 0x58
	v_dual_mov_b32 v1, 0 :: v_dual_lshlrev_b32 v6, 2, v0
	s_waitcnt lgkmcnt(0)
	s_mul_i32 s21, s3, s20
	s_mul_hi_u32 s23, s2, s20
	s_mul_i32 s10, s2, s20
	s_mul_i32 s15, s19, s14
	s_mul_hi_u32 s22, s18, s14
	s_mul_i32 s18, s18, s14
	s_mov_b32 s3, exec_lo
	v_cmpx_gt_u32_e64 s12, v0
	s_cbranch_execz .LBB2_4
; %bb.2:
	s_load_b32 s2, s[0:1], 0x7c
	s_add_i32 s11, s23, s21
	s_add_i32 s19, s22, s15
	s_lshl_b64 s[26:27], s[10:11], 2
	s_lshl_b64 s[28:29], s[18:19], 2
	s_mul_i32 s25, s17, s12
	s_mul_hi_u32 s30, s16, s12
	s_mul_i32 s24, s16, s12
	v_dual_mov_b32 v5, v1 :: v_dual_mov_b32 v4, v0
	s_waitcnt lgkmcnt(0)
	s_and_b32 s11, s2, 0xffff
	s_add_u32 s2, s26, s28
	s_addc_u32 s19, s27, s29
	s_add_i32 s25, s30, s25
	s_delay_alu instid0(SALU_CYCLE_1) | instskip(NEXT) | instid1(SALU_CYCLE_1)
	s_lshl_b64 s[24:25], s[24:25], 2
	s_add_u32 s2, s2, s24
	s_addc_u32 s19, s19, s25
	s_add_u32 s2, s6, s2
	s_addc_u32 s19, s7, s19
	v_add_co_u32 v2, s2, s2, v6
	s_delay_alu instid0(VALU_DEP_1)
	v_add_co_ci_u32_e64 v3, null, s19, 0, s2
	s_mov_b32 s19, 0
	s_lshl_b32 s24, s11, 2
.LBB2_3:                                ; =>This Inner Loop Header: Depth=1
	v_add_co_u32 v4, vcc_lo, v4, s11
	v_add_co_ci_u32_e32 v5, vcc_lo, 0, v5, vcc_lo
	global_store_b32 v[2:3], v1, off
	v_add_co_u32 v2, s2, v2, s24
	v_cmp_le_u64_e32 vcc_lo, s[12:13], v[4:5]
	v_add_co_ci_u32_e64 v3, s2, 0, v3, s2
	s_or_b32 s19, vcc_lo, s19
	s_delay_alu instid0(SALU_CYCLE_1)
	s_and_not1_b32 exec_lo, exec_lo, s19
	s_cbranch_execnz .LBB2_3
.LBB2_4:
	s_or_b32 exec_lo, exec_lo, s3
	v_add_co_u32 v0, s2, v0, s12
	s_delay_alu instid0(VALU_DEP_1) | instskip(SKIP_1) | instid1(VALU_DEP_1)
	v_add_co_ci_u32_e64 v1, null, 0, 0, s2
	s_mov_b32 s2, exec_lo
	v_cmpx_gt_i64_e64 s[8:9], v[0:1]
	s_cbranch_execz .LBB2_7
; %bb.5:
	s_clause 0x2
	s_load_b32 s13, s[0:1], 0x7c
	s_load_b64 s[24:25], s[0:1], 0x48
	s_load_b128 s[0:3], s[0:1], 0x38
	s_add_i32 s11, s23, s21
	s_add_i32 s19, s22, s15
	s_lshl_b64 s[22:23], s[10:11], 2
	s_lshl_b64 s[18:19], s[18:19], 2
	s_waitcnt lgkmcnt(0)
	s_and_b32 s10, s13, 0xffff
	s_add_u32 s18, s22, s18
	s_addc_u32 s19, s23, s19
	s_lshl_b64 s[16:17], s[16:17], 2
	s_mul_i32 s3, s3, s14
	s_mul_hi_u32 s15, s2, s14
	s_mul_i32 s2, s2, s14
	s_add_u32 s14, s16, 4
	s_addc_u32 s16, s17, 0
	s_mul_hi_u32 s17, s14, s12
	s_mul_i32 s16, s16, s12
	s_mul_i32 s14, s14, s12
	s_add_i32 s17, s17, s16
	s_add_u32 s14, s18, s14
	s_mul_i32 s11, s25, s20
	s_mul_hi_u32 s13, s24, s20
	s_addc_u32 s16, s19, s17
	s_add_u32 s17, s6, s14
	s_mul_i32 s20, s24, s20
	s_addc_u32 s7, s7, s16
	s_add_i32 s21, s13, s11
	s_add_i32 s3, s15, s3
	s_lshl_b64 s[14:15], s[20:21], 2
	s_lshl_b64 s[2:3], s[2:3], 2
	s_lshl_b32 s6, s10, 2
	s_add_u32 s2, s14, s2
	s_addc_u32 s3, s15, s3
	s_lshl_b64 s[0:1], s[0:1], 2
	v_add_co_u32 v2, s11, s17, v6
	s_add_u32 s0, s0, 4
	s_addc_u32 s1, s1, 0
	v_add_co_ci_u32_e64 v3, null, s7, 0, s11
	s_mul_hi_u32 s7, s0, s12
	s_mul_i32 s1, s1, s12
	s_mul_i32 s0, s0, s12
	s_add_i32 s7, s7, s1
	s_add_u32 s0, s2, s0
	s_addc_u32 s1, s3, s7
	s_add_u32 s0, s4, s0
	s_addc_u32 s1, s5, s1
	v_add_co_u32 v4, s0, s0, v6
	s_delay_alu instid0(VALU_DEP_1)
	v_add_co_ci_u32_e64 v5, null, s1, 0, s0
	s_mov_b32 s1, 0
	s_mov_b64 s[2:3], 0
	.p2align	6
.LBB2_6:                                ; =>This Inner Loop Header: Depth=1
	s_delay_alu instid0(VALU_DEP_2) | instid1(SALU_CYCLE_1)
	v_add_co_u32 v6, vcc_lo, v4, s2
	s_delay_alu instid0(VALU_DEP_2)
	v_add_co_ci_u32_e32 v7, vcc_lo, s3, v5, vcc_lo
	v_add_co_u32 v0, vcc_lo, v0, s10
	v_add_co_ci_u32_e32 v1, vcc_lo, 0, v1, vcc_lo
	global_load_b32 v8, v[6:7], off
	v_add_co_u32 v6, s0, v2, s2
	v_cmp_le_i64_e32 vcc_lo, s[8:9], v[0:1]
	v_add_co_ci_u32_e64 v7, s0, s3, v3, s0
	s_add_u32 s2, s2, s6
	s_addc_u32 s3, s3, 0
	s_or_b32 s1, vcc_lo, s1
	s_waitcnt vmcnt(0)
	global_store_b32 v[6:7], v8, off
	s_and_not1_b32 exec_lo, exec_lo, s1
	s_cbranch_execnz .LBB2_6
.LBB2_7:
	s_nop 0
	s_sendmsg sendmsg(MSG_DEALLOC_VGPRS)
	s_endpgm
	.section	.rodata,"a",@progbits
	.p2align	6, 0x0
	.amdhsa_kernel _ZL10tri_kernelIfLb0ELi0EEvPKT_PS0_llllllllllll
		.amdhsa_group_segment_fixed_size 0
		.amdhsa_private_segment_fixed_size 0
		.amdhsa_kernarg_size 368
		.amdhsa_user_sgpr_count 13
		.amdhsa_user_sgpr_dispatch_ptr 0
		.amdhsa_user_sgpr_queue_ptr 0
		.amdhsa_user_sgpr_kernarg_segment_ptr 1
		.amdhsa_user_sgpr_dispatch_id 0
		.amdhsa_user_sgpr_private_segment_size 0
		.amdhsa_wavefront_size32 1
		.amdhsa_uses_dynamic_stack 0
		.amdhsa_enable_private_segment 0
		.amdhsa_system_sgpr_workgroup_id_x 1
		.amdhsa_system_sgpr_workgroup_id_y 1
		.amdhsa_system_sgpr_workgroup_id_z 1
		.amdhsa_system_sgpr_workgroup_info 0
		.amdhsa_system_vgpr_workitem_id 0
		.amdhsa_next_free_vgpr 9
		.amdhsa_next_free_sgpr 31
		.amdhsa_reserve_vcc 1
		.amdhsa_float_round_mode_32 0
		.amdhsa_float_round_mode_16_64 0
		.amdhsa_float_denorm_mode_32 3
		.amdhsa_float_denorm_mode_16_64 3
		.amdhsa_dx10_clamp 1
		.amdhsa_ieee_mode 1
		.amdhsa_fp16_overflow 0
		.amdhsa_workgroup_processor_mode 1
		.amdhsa_memory_ordered 1
		.amdhsa_forward_progress 0
		.amdhsa_shared_vgpr_count 0
		.amdhsa_exception_fp_ieee_invalid_op 0
		.amdhsa_exception_fp_denorm_src 0
		.amdhsa_exception_fp_ieee_div_zero 0
		.amdhsa_exception_fp_ieee_overflow 0
		.amdhsa_exception_fp_ieee_underflow 0
		.amdhsa_exception_fp_ieee_inexact 0
		.amdhsa_exception_int_div_zero 0
	.end_amdhsa_kernel
	.section	.text._ZL10tri_kernelIfLb0ELi0EEvPKT_PS0_llllllllllll,"axG",@progbits,_ZL10tri_kernelIfLb0ELi0EEvPKT_PS0_llllllllllll,comdat
.Lfunc_end2:
	.size	_ZL10tri_kernelIfLb0ELi0EEvPKT_PS0_llllllllllll, .Lfunc_end2-_ZL10tri_kernelIfLb0ELi0EEvPKT_PS0_llllllllllll
                                        ; -- End function
	.section	.AMDGPU.csdata,"",@progbits
; Kernel info:
; codeLenInByte = 736
; NumSgprs: 33
; NumVgprs: 9
; ScratchSize: 0
; MemoryBound: 0
; FloatMode: 240
; IeeeMode: 1
; LDSByteSize: 0 bytes/workgroup (compile time only)
; SGPRBlocks: 4
; VGPRBlocks: 1
; NumSGPRsForWavesPerEU: 33
; NumVGPRsForWavesPerEU: 9
; Occupancy: 16
; WaveLimiterHint : 0
; COMPUTE_PGM_RSRC2:SCRATCH_EN: 0
; COMPUTE_PGM_RSRC2:USER_SGPR: 13
; COMPUTE_PGM_RSRC2:TRAP_HANDLER: 0
; COMPUTE_PGM_RSRC2:TGID_X_EN: 1
; COMPUTE_PGM_RSRC2:TGID_Y_EN: 1
; COMPUTE_PGM_RSRC2:TGID_Z_EN: 1
; COMPUTE_PGM_RSRC2:TIDIG_COMP_CNT: 0
	.section	.text._ZL10tri_kernelIfLb0ELi1EEvPKT_PS0_llllllllllll,"axG",@progbits,_ZL10tri_kernelIfLb0ELi1EEvPKT_PS0_llllllllllll,comdat
	.globl	_ZL10tri_kernelIfLb0ELi1EEvPKT_PS0_llllllllllll ; -- Begin function _ZL10tri_kernelIfLb0ELi1EEvPKT_PS0_llllllllllll
	.p2align	8
	.type	_ZL10tri_kernelIfLb0ELi1EEvPKT_PS0_llllllllllll,@function
_ZL10tri_kernelIfLb0ELi1EEvPKT_PS0_llllllllllll: ; @_ZL10tri_kernelIfLb0ELi1EEvPKT_PS0_llllllllllll
; %bb.0:
	s_clause 0x1
	s_load_b128 s[16:19], s[0:1], 0x20
	s_load_b256 s[4:11], s[0:1], 0x0
	s_mov_b32 s21, 0
	s_mov_b32 s20, s15
	;; [unrolled: 1-line block ×5, first 2 shown]
	s_waitcnt lgkmcnt(0)
	v_cmp_ge_i64_e64 s2, s[20:21], s[18:19]
	v_cmp_ge_i64_e64 s3, s[14:15], s[16:17]
	;; [unrolled: 1-line block ×3, first 2 shown]
	s_delay_alu instid0(VALU_DEP_2)
	s_or_b32 s2, s3, s2
	s_delay_alu instid0(VALU_DEP_1) | instid1(SALU_CYCLE_1)
	s_or_b32 s2, s10, s2
	s_delay_alu instid0(SALU_CYCLE_1)
	s_and_b32 vcc_lo, exec_lo, s2
	s_cbranch_vccnz .LBB3_7
; %bb.1:
	s_clause 0x1
	s_load_b128 s[16:19], s[0:1], 0x58
	s_load_b64 s[2:3], s[0:1], 0x68
	v_mov_b32_e32 v1, 0
	s_waitcnt lgkmcnt(0)
	s_mul_i32 s11, s14, s19
	s_mul_hi_u32 s15, s14, s18
	s_mul_i32 s10, s14, s18
	s_mul_i32 s3, s20, s3
	s_mul_hi_u32 s18, s20, s2
	s_add_i32 s11, s15, s11
	s_add_i32 s19, s18, s3
	s_mul_i32 s18, s20, s2
	s_mov_b32 s3, exec_lo
	v_cmpx_ge_u32_e64 s12, v0
	s_cbranch_execz .LBB3_4
; %bb.2:
	s_load_b32 s2, s[0:1], 0x7c
	s_lshl_b64 s[22:23], s[18:19], 2
	s_lshl_b64 s[24:25], s[10:11], 2
	s_mul_i32 s21, s17, s12
	s_mul_hi_u32 s27, s16, s12
	s_mul_i32 s26, s16, s12
	v_dual_mov_b32 v5, v1 :: v_dual_lshlrev_b32 v2, 2, v0
	v_mov_b32_e32 v4, v0
	s_waitcnt lgkmcnt(0)
	s_and_b32 s15, s2, 0xffff
	s_add_u32 s2, s22, s24
	s_addc_u32 s24, s23, s25
	s_add_i32 s27, s27, s21
	s_delay_alu instid0(SALU_CYCLE_1) | instskip(NEXT) | instid1(SALU_CYCLE_1)
	s_lshl_b64 s[22:23], s[26:27], 2
	s_add_u32 s2, s2, s22
	s_addc_u32 s21, s24, s23
	s_add_u32 s2, s6, s2
	s_addc_u32 s21, s7, s21
	v_add_co_u32 v2, s2, s2, v2
	s_delay_alu instid0(VALU_DEP_1)
	v_add_co_ci_u32_e64 v3, null, s21, 0, s2
	s_mov_b32 s21, 0
	s_lshl_b32 s22, s15, 2
.LBB3_3:                                ; =>This Inner Loop Header: Depth=1
	v_add_co_u32 v4, vcc_lo, v4, s15
	v_add_co_ci_u32_e32 v5, vcc_lo, 0, v5, vcc_lo
	global_store_b32 v[2:3], v1, off
	v_add_co_u32 v2, s2, v2, s22
	v_cmp_lt_u64_e32 vcc_lo, s[12:13], v[4:5]
	v_add_co_ci_u32_e64 v3, s2, 0, v3, s2
	s_or_b32 s21, vcc_lo, s21
	s_delay_alu instid0(SALU_CYCLE_1)
	s_and_not1_b32 exec_lo, exec_lo, s21
	s_cbranch_execnz .LBB3_3
.LBB3_4:
	s_or_b32 exec_lo, exec_lo, s3
	s_add_u32 s2, s12, 1
	s_addc_u32 s3, 0, 0
	v_add_co_u32 v1, s2, s2, v0
	s_delay_alu instid0(VALU_DEP_1) | instskip(SKIP_1) | instid1(VALU_DEP_1)
	v_add_co_ci_u32_e64 v2, null, s3, 0, s2
	s_mov_b32 s2, exec_lo
	v_cmpx_gt_i64_e64 s[8:9], v[1:2]
	s_cbranch_execz .LBB3_7
; %bb.5:
	s_clause 0x2
	s_load_b128 s[24:27], s[0:1], 0x38
	s_load_b64 s[2:3], s[0:1], 0x48
	s_load_b32 s0, s[0:1], 0x7c
	s_waitcnt lgkmcnt(0)
	s_mul_i32 s13, s14, s27
	s_mul_hi_u32 s15, s14, s26
	s_mul_i32 s3, s20, s3
	s_mul_hi_u32 s21, s20, s2
	s_and_b32 s1, s0, 0xffff
	s_add_i32 s15, s15, s13
	s_add_i32 s21, s21, s3
	s_add_u32 s0, s18, s10
	s_addc_u32 s3, s19, s11
	s_add_u32 s10, s16, 1
	s_addc_u32 s11, s17, 0
	s_mul_hi_u32 s13, s10, s12
	s_mul_i32 s11, s11, s12
	s_mul_i32 s10, s10, s12
	s_add_i32 s13, s13, s11
	s_add_u32 s0, s0, s10
	s_mul_i32 s14, s14, s26
	s_mul_i32 s2, s20, s2
	s_addc_u32 s3, s3, s13
	s_lshl_b32 s10, s1, 2
	v_add_co_u32 v3, s0, s0, v0
	s_add_u32 s2, s2, s14
	v_add_co_ci_u32_e64 v4, null, s3, 0, s0
	s_addc_u32 s0, s21, s15
	s_add_u32 s3, s24, 1
	s_addc_u32 s11, s25, 0
	s_mul_hi_u32 s13, s3, s12
	s_mul_i32 s11, s11, s12
	s_mul_i32 s3, s3, s12
	s_add_i32 s13, s13, s11
	s_add_u32 s2, s2, s3
	s_addc_u32 s0, s0, s13
	v_add_co_u32 v5, s2, s2, v0
	s_delay_alu instid0(VALU_DEP_1) | instskip(SKIP_2) | instid1(VALU_DEP_2)
	v_add_co_ci_u32_e64 v6, null, s0, 0, s2
	v_lshlrev_b64 v[3:4], 2, v[3:4]
	s_mov_b64 s[2:3], 4
	v_lshlrev_b64 v[5:6], 2, v[5:6]
	s_delay_alu instid0(VALU_DEP_2) | instskip(NEXT) | instid1(VALU_DEP_3)
	v_add_co_u32 v0, vcc_lo, s6, v3
	v_add_co_ci_u32_e32 v3, vcc_lo, s7, v4, vcc_lo
	s_delay_alu instid0(VALU_DEP_3) | instskip(NEXT) | instid1(VALU_DEP_4)
	v_add_co_u32 v4, vcc_lo, s4, v5
	v_add_co_ci_u32_e32 v5, vcc_lo, s5, v6, vcc_lo
	s_mov_b32 s4, 0
	.p2align	6
.LBB3_6:                                ; =>This Inner Loop Header: Depth=1
	s_delay_alu instid0(VALU_DEP_2) | instskip(NEXT) | instid1(VALU_DEP_2)
	v_add_co_u32 v6, vcc_lo, v4, s2
	v_add_co_ci_u32_e32 v7, vcc_lo, s3, v5, vcc_lo
	v_add_co_u32 v1, vcc_lo, v1, s1
	v_add_co_ci_u32_e32 v2, vcc_lo, 0, v2, vcc_lo
	global_load_b32 v8, v[6:7], off
	v_add_co_u32 v6, s0, v0, s2
	v_cmp_le_i64_e32 vcc_lo, s[8:9], v[1:2]
	v_add_co_ci_u32_e64 v7, s0, s3, v3, s0
	s_add_u32 s2, s2, s10
	s_addc_u32 s3, s3, 0
	s_or_b32 s4, vcc_lo, s4
	s_waitcnt vmcnt(0)
	global_store_b32 v[6:7], v8, off
	s_and_not1_b32 exec_lo, exec_lo, s4
	s_cbranch_execnz .LBB3_6
.LBB3_7:
	s_nop 0
	s_sendmsg sendmsg(MSG_DEALLOC_VGPRS)
	s_endpgm
	.section	.rodata,"a",@progbits
	.p2align	6, 0x0
	.amdhsa_kernel _ZL10tri_kernelIfLb0ELi1EEvPKT_PS0_llllllllllll
		.amdhsa_group_segment_fixed_size 0
		.amdhsa_private_segment_fixed_size 0
		.amdhsa_kernarg_size 368
		.amdhsa_user_sgpr_count 13
		.amdhsa_user_sgpr_dispatch_ptr 0
		.amdhsa_user_sgpr_queue_ptr 0
		.amdhsa_user_sgpr_kernarg_segment_ptr 1
		.amdhsa_user_sgpr_dispatch_id 0
		.amdhsa_user_sgpr_private_segment_size 0
		.amdhsa_wavefront_size32 1
		.amdhsa_uses_dynamic_stack 0
		.amdhsa_enable_private_segment 0
		.amdhsa_system_sgpr_workgroup_id_x 1
		.amdhsa_system_sgpr_workgroup_id_y 1
		.amdhsa_system_sgpr_workgroup_id_z 1
		.amdhsa_system_sgpr_workgroup_info 0
		.amdhsa_system_vgpr_workitem_id 0
		.amdhsa_next_free_vgpr 9
		.amdhsa_next_free_sgpr 28
		.amdhsa_reserve_vcc 1
		.amdhsa_float_round_mode_32 0
		.amdhsa_float_round_mode_16_64 0
		.amdhsa_float_denorm_mode_32 3
		.amdhsa_float_denorm_mode_16_64 3
		.amdhsa_dx10_clamp 1
		.amdhsa_ieee_mode 1
		.amdhsa_fp16_overflow 0
		.amdhsa_workgroup_processor_mode 1
		.amdhsa_memory_ordered 1
		.amdhsa_forward_progress 0
		.amdhsa_shared_vgpr_count 0
		.amdhsa_exception_fp_ieee_invalid_op 0
		.amdhsa_exception_fp_denorm_src 0
		.amdhsa_exception_fp_ieee_div_zero 0
		.amdhsa_exception_fp_ieee_overflow 0
		.amdhsa_exception_fp_ieee_underflow 0
		.amdhsa_exception_fp_ieee_inexact 0
		.amdhsa_exception_int_div_zero 0
	.end_amdhsa_kernel
	.section	.text._ZL10tri_kernelIfLb0ELi1EEvPKT_PS0_llllllllllll,"axG",@progbits,_ZL10tri_kernelIfLb0ELi1EEvPKT_PS0_llllllllllll,comdat
.Lfunc_end3:
	.size	_ZL10tri_kernelIfLb0ELi1EEvPKT_PS0_llllllllllll, .Lfunc_end3-_ZL10tri_kernelIfLb0ELi1EEvPKT_PS0_llllllllllll
                                        ; -- End function
	.section	.AMDGPU.csdata,"",@progbits
; Kernel info:
; codeLenInByte = 740
; NumSgprs: 30
; NumVgprs: 9
; ScratchSize: 0
; MemoryBound: 0
; FloatMode: 240
; IeeeMode: 1
; LDSByteSize: 0 bytes/workgroup (compile time only)
; SGPRBlocks: 3
; VGPRBlocks: 1
; NumSGPRsForWavesPerEU: 30
; NumVGPRsForWavesPerEU: 9
; Occupancy: 16
; WaveLimiterHint : 0
; COMPUTE_PGM_RSRC2:SCRATCH_EN: 0
; COMPUTE_PGM_RSRC2:USER_SGPR: 13
; COMPUTE_PGM_RSRC2:TRAP_HANDLER: 0
; COMPUTE_PGM_RSRC2:TGID_X_EN: 1
; COMPUTE_PGM_RSRC2:TGID_Y_EN: 1
; COMPUTE_PGM_RSRC2:TGID_Z_EN: 1
; COMPUTE_PGM_RSRC2:TIDIG_COMP_CNT: 0
	.section	.text._ZL10tri_kernelI6__halfLb1ELi0EEvPKT_PS1_llllllllllll,"axG",@progbits,_ZL10tri_kernelI6__halfLb1ELi0EEvPKT_PS1_llllllllllll,comdat
	.globl	_ZL10tri_kernelI6__halfLb1ELi0EEvPKT_PS1_llllllllllll ; -- Begin function _ZL10tri_kernelI6__halfLb1ELi0EEvPKT_PS1_llllllllllll
	.p2align	8
	.type	_ZL10tri_kernelI6__halfLb1ELi0EEvPKT_PS1_llllllllllll,@function
_ZL10tri_kernelI6__halfLb1ELi0EEvPKT_PS1_llllllllllll: ; @_ZL10tri_kernelI6__halfLb1ELi0EEvPKT_PS1_llllllllllll
; %bb.0:
	s_clause 0x1
	s_load_b128 s[20:23], s[0:1], 0x20
	s_load_b256 s[4:11], s[0:1], 0x0
	s_mov_b32 s3, 0
	s_mov_b32 s2, s15
	;; [unrolled: 1-line block ×5, first 2 shown]
	s_waitcnt lgkmcnt(0)
	v_cmp_ge_i64_e64 s3, s[2:3], s[22:23]
	v_cmp_ge_i64_e64 s12, s[14:15], s[20:21]
	;; [unrolled: 1-line block ×3, first 2 shown]
	s_delay_alu instid0(VALU_DEP_2)
	s_or_b32 s3, s12, s3
	s_delay_alu instid0(VALU_DEP_1) | instid1(SALU_CYCLE_1)
	s_or_b32 s3, s10, s3
	s_delay_alu instid0(SALU_CYCLE_1)
	s_and_b32 vcc_lo, exec_lo, s3
	s_cbranch_vccnz .LBB4_16
; %bb.1:
	s_clause 0x1
	s_load_b128 s[20:23], s[0:1], 0x58
	s_load_b64 s[16:17], s[0:1], 0x68
	v_mov_b32_e32 v1, 0
	s_waitcnt lgkmcnt(0)
	s_mul_i32 s3, s18, s21
	s_mul_hi_u32 s11, s18, s20
	s_mul_i32 s10, s18, s20
	s_mul_i32 s13, s14, s23
	s_mul_hi_u32 s15, s14, s22
	s_mul_i32 s17, s2, s17
	s_mul_hi_u32 s20, s2, s16
	s_mul_i32 s12, s14, s22
	s_add_i32 s11, s11, s3
	s_add_i32 s13, s15, s13
	;; [unrolled: 1-line block ×3, first 2 shown]
	s_mul_i32 s16, s2, s16
	s_mov_b32 s3, exec_lo
	v_cmpx_gt_u32_e64 s18, v0
	s_cbranch_execz .LBB4_4
; %bb.2:
	s_clause 0x2
	s_load_b32 s15, s[0:1], 0x7c
	s_load_b64 s[24:25], s[0:1], 0x48
	s_load_b128 s[20:23], s[0:1], 0x38
	s_lshl_b64 s[26:27], s[16:17], 1
	s_lshl_b64 s[28:29], s[12:13], 1
	v_lshlrev_b32_e32 v2, 1, v0
	s_waitcnt lgkmcnt(0)
	s_and_b32 s15, s15, 0xffff
	s_mul_i32 s25, s25, s2
	s_mul_hi_u32 s30, s24, s2
	s_mul_i32 s24, s24, s2
	s_mul_i32 s2, s23, s14
	s_mul_hi_u32 s23, s22, s14
	s_mul_i32 s22, s22, s14
	s_add_u32 s14, s26, s28
	s_addc_u32 s28, s27, s29
	s_lshl_b64 s[26:27], s[10:11], 1
	s_mul_i32 s21, s21, s18
	s_add_u32 s14, s14, s26
	s_addc_u32 s26, s28, s27
	s_add_u32 s27, s6, s14
	s_addc_u32 s26, s7, s26
	s_add_i32 s25, s30, s25
	s_add_i32 s23, s23, s2
	s_lshl_b64 s[24:25], s[24:25], 1
	s_lshl_b64 s[22:23], s[22:23], 1
	s_mul_hi_u32 s31, s20, s18
	s_lshl_b32 s14, s15, 1
	s_add_u32 s2, s24, s22
	s_mul_i32 s20, s20, s18
	s_addc_u32 s22, s25, s23
	s_add_i32 s21, s31, s21
	v_add_co_u32 v3, s23, s27, v2
	s_lshl_b64 s[20:21], s[20:21], 1
	v_add_co_ci_u32_e64 v4, null, s26, 0, s23
	s_add_u32 s2, s2, s20
	s_addc_u32 s20, s22, s21
	s_add_u32 s2, s4, s2
	s_addc_u32 s4, s5, s20
	v_add_co_u32 v5, s2, s2, v2
	v_mov_b32_e32 v2, v1
	v_mov_b32_e32 v1, v0
	v_add_co_ci_u32_e64 v6, null, s4, 0, s2
	s_mov_b32 s20, 0
	s_mov_b64 s[4:5], 0
	.p2align	6
.LBB4_3:                                ; =>This Inner Loop Header: Depth=1
	s_delay_alu instid0(SALU_CYCLE_1) | instskip(NEXT) | instid1(VALU_DEP_2)
	v_add_co_u32 v7, vcc_lo, v5, s4
	v_add_co_ci_u32_e32 v8, vcc_lo, s5, v6, vcc_lo
	v_add_co_u32 v1, vcc_lo, v1, s15
	v_add_co_ci_u32_e32 v2, vcc_lo, 0, v2, vcc_lo
	global_load_u16 v9, v[7:8], off
	v_add_co_u32 v7, s2, v3, s4
	v_cmp_le_u64_e32 vcc_lo, s[18:19], v[1:2]
	v_add_co_ci_u32_e64 v8, s2, s5, v4, s2
	s_add_u32 s4, s4, s14
	s_addc_u32 s5, s5, 0
	s_or_b32 s20, vcc_lo, s20
	s_waitcnt vmcnt(0)
	global_store_b16 v[7:8], v9, off
	s_and_not1_b32 exec_lo, exec_lo, s20
	s_cbranch_execnz .LBB4_3
.LBB4_4:
	s_or_b32 exec_lo, exec_lo, s3
	v_add_co_u32 v0, s2, v0, s18
	s_delay_alu instid0(VALU_DEP_1) | instskip(SKIP_1) | instid1(VALU_DEP_1)
	v_add_co_ci_u32_e64 v1, null, 0, 0, s2
	s_mov_b32 s2, exec_lo
	v_cmpx_gt_i64_e64 s[8:9], v[0:1]
	s_cbranch_execz .LBB4_16
; %bb.5:
	s_load_b32 s0, s[0:1], 0x7c
	s_waitcnt lgkmcnt(0)
	s_and_b32 s1, s0, 0xffff
	s_mov_b32 s0, exec_lo
	v_add_co_u32 v2, vcc_lo, v0, s1
	v_add_co_ci_u32_e32 v3, vcc_lo, 0, v1, vcc_lo
	s_delay_alu instid0(VALU_DEP_1) | instskip(SKIP_3) | instid1(VALU_DEP_3)
	v_cmp_gt_i64_e32 vcc_lo, s[8:9], v[2:3]
	v_cndmask_b32_e64 v6, 0, 1, vcc_lo
	v_cndmask_b32_e64 v4, v3, s9, vcc_lo
	;; [unrolled: 1-line block ×3, first 2 shown]
	v_add_co_u32 v2, vcc_lo, v2, v6
	v_add_co_ci_u32_e32 v3, vcc_lo, 0, v3, vcc_lo
	s_delay_alu instid0(VALU_DEP_2) | instskip(NEXT) | instid1(VALU_DEP_2)
	v_sub_co_u32 v7, vcc_lo, v5, v2
	v_sub_co_ci_u32_e32 v3, vcc_lo, v4, v3, vcc_lo
	v_mov_b32_e32 v2, 0
                                        ; implicit-def: $vgpr4_vgpr5
	s_delay_alu instid0(VALU_DEP_1)
	v_cmpx_ne_u64_e32 0, v[2:3]
	s_xor_b32 s2, exec_lo, s0
	s_cbranch_execz .LBB4_7
; %bb.6:
	v_cvt_f32_u32_e32 v2, s1
	s_sub_u32 s0, 0, s1
	s_subb_u32 s3, 0, 0
	s_delay_alu instid0(VALU_DEP_1) | instskip(NEXT) | instid1(VALU_DEP_1)
	v_fmamk_f32 v2, 0, 0x4f800000, v2
	v_rcp_f32_e32 v2, v2
	s_waitcnt_depctr 0xfff
	v_mul_f32_e32 v2, 0x5f7ffffc, v2
	s_delay_alu instid0(VALU_DEP_1) | instskip(NEXT) | instid1(VALU_DEP_1)
	v_mul_f32_e32 v4, 0x2f800000, v2
	v_trunc_f32_e32 v4, v4
	s_delay_alu instid0(VALU_DEP_1) | instskip(SKIP_1) | instid1(VALU_DEP_2)
	v_fmamk_f32 v2, v4, 0xcf800000, v2
	v_cvt_u32_f32_e32 v4, v4
	v_cvt_u32_f32_e32 v2, v2
	s_delay_alu instid0(VALU_DEP_2) | instskip(NEXT) | instid1(VALU_DEP_2)
	v_mul_lo_u32 v5, s0, v4
	v_mul_hi_u32 v8, s0, v2
	v_mul_lo_u32 v9, s3, v2
	s_delay_alu instid0(VALU_DEP_2) | instskip(SKIP_1) | instid1(VALU_DEP_2)
	v_add_nc_u32_e32 v5, v8, v5
	v_mul_lo_u32 v8, s0, v2
	v_add_nc_u32_e32 v5, v5, v9
	s_delay_alu instid0(VALU_DEP_2) | instskip(NEXT) | instid1(VALU_DEP_2)
	v_mul_hi_u32 v9, v2, v8
	v_mul_lo_u32 v10, v2, v5
	v_mul_hi_u32 v11, v2, v5
	v_mul_hi_u32 v12, v4, v8
	v_mul_lo_u32 v8, v4, v8
	v_mul_hi_u32 v13, v4, v5
	v_mul_lo_u32 v5, v4, v5
	v_add_co_u32 v9, vcc_lo, v9, v10
	v_add_co_ci_u32_e32 v10, vcc_lo, 0, v11, vcc_lo
	s_delay_alu instid0(VALU_DEP_2) | instskip(NEXT) | instid1(VALU_DEP_2)
	v_add_co_u32 v8, vcc_lo, v9, v8
	v_add_co_ci_u32_e32 v8, vcc_lo, v10, v12, vcc_lo
	v_add_co_ci_u32_e32 v9, vcc_lo, 0, v13, vcc_lo
	s_delay_alu instid0(VALU_DEP_2) | instskip(NEXT) | instid1(VALU_DEP_2)
	v_add_co_u32 v5, vcc_lo, v8, v5
	v_add_co_ci_u32_e32 v8, vcc_lo, 0, v9, vcc_lo
	s_delay_alu instid0(VALU_DEP_2) | instskip(NEXT) | instid1(VALU_DEP_2)
	v_add_co_u32 v2, vcc_lo, v2, v5
	v_add_co_ci_u32_e32 v4, vcc_lo, v4, v8, vcc_lo
	s_delay_alu instid0(VALU_DEP_2) | instskip(SKIP_1) | instid1(VALU_DEP_3)
	v_mul_hi_u32 v5, s0, v2
	v_mul_lo_u32 v9, s3, v2
	v_mul_lo_u32 v8, s0, v4
	s_delay_alu instid0(VALU_DEP_1) | instskip(SKIP_1) | instid1(VALU_DEP_2)
	v_add_nc_u32_e32 v5, v5, v8
	v_mul_lo_u32 v8, s0, v2
	v_add_nc_u32_e32 v5, v5, v9
	s_delay_alu instid0(VALU_DEP_2) | instskip(NEXT) | instid1(VALU_DEP_2)
	v_mul_hi_u32 v9, v2, v8
	v_mul_lo_u32 v10, v2, v5
	v_mul_hi_u32 v11, v2, v5
	v_mul_hi_u32 v12, v4, v8
	v_mul_lo_u32 v8, v4, v8
	v_mul_hi_u32 v13, v4, v5
	v_mul_lo_u32 v5, v4, v5
	v_add_co_u32 v9, vcc_lo, v9, v10
	v_add_co_ci_u32_e32 v10, vcc_lo, 0, v11, vcc_lo
	s_delay_alu instid0(VALU_DEP_2) | instskip(NEXT) | instid1(VALU_DEP_2)
	v_add_co_u32 v8, vcc_lo, v9, v8
	v_add_co_ci_u32_e32 v8, vcc_lo, v10, v12, vcc_lo
	v_add_co_ci_u32_e32 v9, vcc_lo, 0, v13, vcc_lo
	s_delay_alu instid0(VALU_DEP_2) | instskip(NEXT) | instid1(VALU_DEP_2)
	v_add_co_u32 v5, vcc_lo, v8, v5
	v_add_co_ci_u32_e32 v8, vcc_lo, 0, v9, vcc_lo
	s_delay_alu instid0(VALU_DEP_2) | instskip(NEXT) | instid1(VALU_DEP_2)
	v_add_co_u32 v2, vcc_lo, v2, v5
	v_add_co_ci_u32_e32 v12, vcc_lo, v4, v8, vcc_lo
	s_delay_alu instid0(VALU_DEP_2) | instskip(SKIP_1) | instid1(VALU_DEP_3)
	v_mul_hi_u32 v13, v7, v2
	v_mad_u64_u32 v[8:9], null, v3, v2, 0
	v_mad_u64_u32 v[4:5], null, v7, v12, 0
	;; [unrolled: 1-line block ×3, first 2 shown]
	s_delay_alu instid0(VALU_DEP_2) | instskip(NEXT) | instid1(VALU_DEP_3)
	v_add_co_u32 v2, vcc_lo, v13, v4
	v_add_co_ci_u32_e32 v4, vcc_lo, 0, v5, vcc_lo
	s_delay_alu instid0(VALU_DEP_2) | instskip(NEXT) | instid1(VALU_DEP_2)
	v_add_co_u32 v2, vcc_lo, v2, v8
	v_add_co_ci_u32_e32 v2, vcc_lo, v4, v9, vcc_lo
	v_add_co_ci_u32_e32 v4, vcc_lo, 0, v11, vcc_lo
	s_delay_alu instid0(VALU_DEP_2) | instskip(NEXT) | instid1(VALU_DEP_2)
	v_add_co_u32 v10, vcc_lo, v2, v10
	v_add_co_ci_u32_e32 v11, vcc_lo, 0, v4, vcc_lo
	s_delay_alu instid0(VALU_DEP_2) | instskip(NEXT) | instid1(VALU_DEP_1)
	v_mad_u64_u32 v[4:5], null, s1, v10, 0
	v_mov_b32_e32 v2, v5
	s_delay_alu instid0(VALU_DEP_1) | instskip(NEXT) | instid1(VALU_DEP_3)
	v_mad_u64_u32 v[8:9], null, s1, v11, v[2:3]
	v_sub_co_u32 v2, vcc_lo, v7, v4
	s_delay_alu instid0(VALU_DEP_2) | instskip(NEXT) | instid1(VALU_DEP_2)
	v_sub_co_ci_u32_e32 v3, vcc_lo, v3, v8, vcc_lo
	v_sub_co_u32 v4, vcc_lo, v2, s1
	s_delay_alu instid0(VALU_DEP_2) | instskip(NEXT) | instid1(VALU_DEP_2)
	v_subrev_co_ci_u32_e32 v5, vcc_lo, 0, v3, vcc_lo
	v_cmp_le_u32_e32 vcc_lo, s1, v4
	v_cmp_eq_u32_e64 s0, 0, v3
	v_cndmask_b32_e64 v4, 0, -1, vcc_lo
	v_add_co_u32 v7, vcc_lo, v10, 2
	v_add_co_ci_u32_e32 v8, vcc_lo, 0, v11, vcc_lo
	v_cmp_le_u32_e32 vcc_lo, s1, v2
	v_cndmask_b32_e64 v2, 0, -1, vcc_lo
	v_cmp_eq_u32_e32 vcc_lo, 0, v5
	s_delay_alu instid0(VALU_DEP_2) | instskip(SKIP_3) | instid1(VALU_DEP_3)
	v_cndmask_b32_e64 v2, -1, v2, s0
	v_cndmask_b32_e32 v4, -1, v4, vcc_lo
	v_add_co_u32 v5, vcc_lo, v10, 1
	v_add_co_ci_u32_e32 v9, vcc_lo, 0, v11, vcc_lo
	v_cmp_ne_u32_e32 vcc_lo, 0, v4
	s_delay_alu instid0(VALU_DEP_2) | instskip(NEXT) | instid1(VALU_DEP_4)
	v_cndmask_b32_e32 v3, v9, v8, vcc_lo
	v_cndmask_b32_e32 v4, v5, v7, vcc_lo
	v_cmp_ne_u32_e32 vcc_lo, 0, v2
                                        ; implicit-def: $vgpr7
	s_delay_alu instid0(VALU_DEP_2)
	v_dual_cndmask_b32 v5, v11, v3 :: v_dual_cndmask_b32 v4, v10, v4
.LBB4_7:
	s_and_not1_saveexec_b32 s0, s2
	s_cbranch_execz .LBB4_9
; %bb.8:
	v_cvt_f32_u32_e32 v2, s1
	s_sub_i32 s2, 0, s1
	s_delay_alu instid0(VALU_DEP_1) | instskip(SKIP_2) | instid1(VALU_DEP_1)
	v_rcp_iflag_f32_e32 v2, v2
	s_waitcnt_depctr 0xfff
	v_mul_f32_e32 v2, 0x4f7ffffe, v2
	v_cvt_u32_f32_e32 v2, v2
	s_delay_alu instid0(VALU_DEP_1) | instskip(NEXT) | instid1(VALU_DEP_1)
	v_mul_lo_u32 v3, s2, v2
	v_mul_hi_u32 v3, v2, v3
	s_delay_alu instid0(VALU_DEP_1) | instskip(NEXT) | instid1(VALU_DEP_1)
	v_add_nc_u32_e32 v2, v2, v3
	v_mul_hi_u32 v2, v7, v2
	s_delay_alu instid0(VALU_DEP_1) | instskip(SKIP_1) | instid1(VALU_DEP_2)
	v_mul_lo_u32 v3, v2, s1
	v_add_nc_u32_e32 v4, 1, v2
	v_sub_nc_u32_e32 v3, v7, v3
	s_delay_alu instid0(VALU_DEP_1) | instskip(SKIP_1) | instid1(VALU_DEP_2)
	v_subrev_nc_u32_e32 v5, s1, v3
	v_cmp_le_u32_e32 vcc_lo, s1, v3
	v_cndmask_b32_e32 v3, v3, v5, vcc_lo
	v_dual_mov_b32 v5, 0 :: v_dual_cndmask_b32 v2, v2, v4
	s_delay_alu instid0(VALU_DEP_2) | instskip(NEXT) | instid1(VALU_DEP_2)
	v_cmp_le_u32_e32 vcc_lo, s1, v3
	v_add_nc_u32_e32 v4, 1, v2
	s_delay_alu instid0(VALU_DEP_1)
	v_cndmask_b32_e32 v4, v2, v4, vcc_lo
.LBB4_9:
	s_or_b32 exec_lo, exec_lo, s0
	s_delay_alu instid0(VALU_DEP_1) | instskip(SKIP_2) | instid1(VALU_DEP_3)
	v_add_co_u32 v2, vcc_lo, v4, v6
	v_add_co_ci_u32_e32 v3, vcc_lo, 0, v5, vcc_lo
	v_cmp_eq_u16_e64 s0, s1, 1
	v_add_co_u32 v2, vcc_lo, v2, 1
	s_delay_alu instid0(VALU_DEP_3) | instskip(NEXT) | instid1(VALU_DEP_1)
	v_add_co_ci_u32_e32 v3, vcc_lo, 0, v3, vcc_lo
	v_cmp_lt_u64_e32 vcc_lo, 1, v[2:3]
	s_delay_alu instid0(VALU_DEP_4)
	s_and_b32 s3, vcc_lo, s0
	s_mov_b32 s0, -1
	s_and_saveexec_b32 s2, s3
	s_cbranch_execz .LBB4_13
; %bb.10:
	s_lshl_b64 s[4:5], s[10:11], 1
	v_lshlrev_b64 v[6:7], 1, v[0:1]
	s_add_u32 s0, s6, s4
	s_addc_u32 s3, s7, s5
	s_lshl_b64 s[4:5], s[12:13], 1
	v_dual_mov_b32 v5, v3 :: v_dual_and_b32 v4, -2, v2
	s_add_u32 s0, s0, s4
	s_addc_u32 s3, s3, s5
	s_lshl_b64 s[4:5], s[16:17], 1
	s_delay_alu instid0(VALU_DEP_1)
	v_dual_mov_b32 v10, 0 :: v_dual_mov_b32 v9, v5
	s_add_u32 s0, s0, s4
	s_addc_u32 s3, s3, s5
	v_add_co_u32 v6, vcc_lo, s0, v6
	v_add_co_ci_u32_e32 v7, vcc_lo, s3, v7, vcc_lo
	v_mov_b32_e32 v8, v4
	s_lshl_b32 s4, s1, 2
	s_mov_b32 s3, 0
.LBB4_11:                               ; =>This Inner Loop Header: Depth=1
	s_delay_alu instid0(VALU_DEP_1)
	v_add_co_u32 v8, vcc_lo, v8, -2
	v_add_co_ci_u32_e32 v9, vcc_lo, -1, v9, vcc_lo
	global_store_b32 v[6:7], v10, off
	v_add_co_u32 v6, s0, v6, s4
	v_cmp_eq_u64_e32 vcc_lo, 0, v[8:9]
	v_add_co_ci_u32_e64 v7, s0, 0, v7, s0
	s_or_b32 s3, vcc_lo, s3
	s_delay_alu instid0(SALU_CYCLE_1)
	s_and_not1_b32 exec_lo, exec_lo, s3
	s_cbranch_execnz .LBB4_11
; %bb.12:
	s_or_b32 exec_lo, exec_lo, s3
	v_mad_u64_u32 v[6:7], null, v4, s1, v[0:1]
	v_cmp_ne_u64_e32 vcc_lo, v[2:3], v[4:5]
	s_or_not1_b32 s0, vcc_lo, exec_lo
	s_delay_alu instid0(VALU_DEP_2) | instskip(NEXT) | instid1(VALU_DEP_1)
	v_mov_b32_e32 v0, v7
	v_mad_u64_u32 v[7:8], null, v5, s1, v[0:1]
	s_delay_alu instid0(VALU_DEP_1)
	v_dual_mov_b32 v0, v6 :: v_dual_mov_b32 v1, v7
.LBB4_13:
	s_or_b32 exec_lo, exec_lo, s2
	s_delay_alu instid0(SALU_CYCLE_1)
	s_and_b32 exec_lo, exec_lo, s0
	s_cbranch_execz .LBB4_16
; %bb.14:
	s_lshl_b64 s[2:3], s[16:17], 1
	s_lshl_b64 s[4:5], s[12:13], 1
	v_lshlrev_b64 v[2:3], 1, v[0:1]
	s_add_u32 s0, s2, s4
	s_addc_u32 s4, s3, s5
	s_lshl_b64 s[2:3], s[10:11], 1
	v_mov_b32_e32 v4, 0
	s_add_u32 s0, s0, s2
	s_addc_u32 s2, s4, s3
	s_add_u32 s0, s6, s0
	s_addc_u32 s2, s7, s2
	v_add_co_u32 v2, vcc_lo, s0, v2
	v_add_co_ci_u32_e32 v3, vcc_lo, s2, v3, vcc_lo
	s_lshl_b32 s2, s1, 1
	s_mov_b32 s3, 0
.LBB4_15:                               ; =>This Inner Loop Header: Depth=1
	v_add_co_u32 v0, vcc_lo, v0, s1
	v_add_co_ci_u32_e32 v1, vcc_lo, 0, v1, vcc_lo
	global_store_b16 v[2:3], v4, off
	v_add_co_u32 v2, s0, v2, s2
	v_cmp_le_i64_e32 vcc_lo, s[8:9], v[0:1]
	v_add_co_ci_u32_e64 v3, s0, 0, v3, s0
	s_or_b32 s3, vcc_lo, s3
	s_delay_alu instid0(SALU_CYCLE_1)
	s_and_not1_b32 exec_lo, exec_lo, s3
	s_cbranch_execnz .LBB4_15
.LBB4_16:
	s_nop 0
	s_sendmsg sendmsg(MSG_DEALLOC_VGPRS)
	s_endpgm
	.section	.rodata,"a",@progbits
	.p2align	6, 0x0
	.amdhsa_kernel _ZL10tri_kernelI6__halfLb1ELi0EEvPKT_PS1_llllllllllll
		.amdhsa_group_segment_fixed_size 0
		.amdhsa_private_segment_fixed_size 0
		.amdhsa_kernarg_size 368
		.amdhsa_user_sgpr_count 13
		.amdhsa_user_sgpr_dispatch_ptr 0
		.amdhsa_user_sgpr_queue_ptr 0
		.amdhsa_user_sgpr_kernarg_segment_ptr 1
		.amdhsa_user_sgpr_dispatch_id 0
		.amdhsa_user_sgpr_private_segment_size 0
		.amdhsa_wavefront_size32 1
		.amdhsa_uses_dynamic_stack 0
		.amdhsa_enable_private_segment 0
		.amdhsa_system_sgpr_workgroup_id_x 1
		.amdhsa_system_sgpr_workgroup_id_y 1
		.amdhsa_system_sgpr_workgroup_id_z 1
		.amdhsa_system_sgpr_workgroup_info 0
		.amdhsa_system_vgpr_workitem_id 0
		.amdhsa_next_free_vgpr 14
		.amdhsa_next_free_sgpr 32
		.amdhsa_reserve_vcc 1
		.amdhsa_float_round_mode_32 0
		.amdhsa_float_round_mode_16_64 0
		.amdhsa_float_denorm_mode_32 3
		.amdhsa_float_denorm_mode_16_64 3
		.amdhsa_dx10_clamp 1
		.amdhsa_ieee_mode 1
		.amdhsa_fp16_overflow 0
		.amdhsa_workgroup_processor_mode 1
		.amdhsa_memory_ordered 1
		.amdhsa_forward_progress 0
		.amdhsa_shared_vgpr_count 0
		.amdhsa_exception_fp_ieee_invalid_op 0
		.amdhsa_exception_fp_denorm_src 0
		.amdhsa_exception_fp_ieee_div_zero 0
		.amdhsa_exception_fp_ieee_overflow 0
		.amdhsa_exception_fp_ieee_underflow 0
		.amdhsa_exception_fp_ieee_inexact 0
		.amdhsa_exception_int_div_zero 0
	.end_amdhsa_kernel
	.section	.text._ZL10tri_kernelI6__halfLb1ELi0EEvPKT_PS1_llllllllllll,"axG",@progbits,_ZL10tri_kernelI6__halfLb1ELi0EEvPKT_PS1_llllllllllll,comdat
.Lfunc_end4:
	.size	_ZL10tri_kernelI6__halfLb1ELi0EEvPKT_PS1_llllllllllll, .Lfunc_end4-_ZL10tri_kernelI6__halfLb1ELi0EEvPKT_PS1_llllllllllll
                                        ; -- End function
	.section	.AMDGPU.csdata,"",@progbits
; Kernel info:
; codeLenInByte = 1880
; NumSgprs: 34
; NumVgprs: 14
; ScratchSize: 0
; MemoryBound: 0
; FloatMode: 240
; IeeeMode: 1
; LDSByteSize: 0 bytes/workgroup (compile time only)
; SGPRBlocks: 4
; VGPRBlocks: 1
; NumSGPRsForWavesPerEU: 34
; NumVGPRsForWavesPerEU: 14
; Occupancy: 16
; WaveLimiterHint : 0
; COMPUTE_PGM_RSRC2:SCRATCH_EN: 0
; COMPUTE_PGM_RSRC2:USER_SGPR: 13
; COMPUTE_PGM_RSRC2:TRAP_HANDLER: 0
; COMPUTE_PGM_RSRC2:TGID_X_EN: 1
; COMPUTE_PGM_RSRC2:TGID_Y_EN: 1
; COMPUTE_PGM_RSRC2:TGID_Z_EN: 1
; COMPUTE_PGM_RSRC2:TIDIG_COMP_CNT: 0
	.section	.text._ZL10tri_kernelI6__halfLb1ELi1EEvPKT_PS1_llllllllllll,"axG",@progbits,_ZL10tri_kernelI6__halfLb1ELi1EEvPKT_PS1_llllllllllll,comdat
	.globl	_ZL10tri_kernelI6__halfLb1ELi1EEvPKT_PS1_llllllllllll ; -- Begin function _ZL10tri_kernelI6__halfLb1ELi1EEvPKT_PS1_llllllllllll
	.p2align	8
	.type	_ZL10tri_kernelI6__halfLb1ELi1EEvPKT_PS1_llllllllllll,@function
_ZL10tri_kernelI6__halfLb1ELi1EEvPKT_PS1_llllllllllll: ; @_ZL10tri_kernelI6__halfLb1ELi1EEvPKT_PS1_llllllllllll
; %bb.0:
	s_clause 0x1
	s_load_b128 s[20:23], s[0:1], 0x20
	s_load_b256 s[4:11], s[0:1], 0x0
	s_mov_b32 s3, 0
	s_mov_b32 s2, s15
	;; [unrolled: 1-line block ×5, first 2 shown]
	s_waitcnt lgkmcnt(0)
	v_cmp_ge_i64_e64 s3, s[2:3], s[22:23]
	v_cmp_ge_i64_e64 s12, s[14:15], s[20:21]
	;; [unrolled: 1-line block ×3, first 2 shown]
	s_delay_alu instid0(VALU_DEP_2)
	s_or_b32 s3, s12, s3
	s_delay_alu instid0(VALU_DEP_1) | instid1(SALU_CYCLE_1)
	s_or_b32 s3, s10, s3
	s_delay_alu instid0(SALU_CYCLE_1)
	s_and_b32 vcc_lo, exec_lo, s3
	s_cbranch_vccnz .LBB5_16
; %bb.1:
	s_clause 0x1
	s_load_b128 s[20:23], s[0:1], 0x58
	s_load_b64 s[16:17], s[0:1], 0x68
	v_mov_b32_e32 v1, 0
	s_waitcnt lgkmcnt(0)
	s_mul_i32 s3, s18, s21
	s_mul_hi_u32 s11, s18, s20
	s_mul_i32 s10, s18, s20
	s_mul_i32 s13, s14, s23
	s_mul_hi_u32 s15, s14, s22
	s_mul_i32 s17, s2, s17
	s_mul_hi_u32 s20, s2, s16
	s_mul_i32 s12, s14, s22
	s_add_i32 s11, s11, s3
	s_add_i32 s13, s15, s13
	;; [unrolled: 1-line block ×3, first 2 shown]
	s_mul_i32 s16, s2, s16
	s_mov_b32 s3, exec_lo
	v_cmpx_ge_u32_e64 s18, v0
	s_cbranch_execz .LBB5_4
; %bb.2:
	s_clause 0x2
	s_load_b32 s15, s[0:1], 0x7c
	s_load_b64 s[24:25], s[0:1], 0x48
	s_load_b128 s[20:23], s[0:1], 0x38
	s_lshl_b64 s[26:27], s[16:17], 1
	s_lshl_b64 s[28:29], s[12:13], 1
	v_lshlrev_b32_e32 v2, 1, v0
	s_waitcnt lgkmcnt(0)
	s_and_b32 s15, s15, 0xffff
	s_mul_i32 s25, s25, s2
	s_mul_hi_u32 s30, s24, s2
	s_mul_i32 s24, s24, s2
	s_mul_i32 s2, s23, s14
	s_mul_hi_u32 s23, s22, s14
	s_mul_i32 s22, s22, s14
	s_add_u32 s14, s26, s28
	s_addc_u32 s28, s27, s29
	s_lshl_b64 s[26:27], s[10:11], 1
	s_mul_i32 s21, s21, s18
	s_add_u32 s14, s14, s26
	s_addc_u32 s26, s28, s27
	s_add_u32 s27, s6, s14
	s_addc_u32 s26, s7, s26
	s_add_i32 s25, s30, s25
	s_add_i32 s23, s23, s2
	s_lshl_b64 s[24:25], s[24:25], 1
	s_lshl_b64 s[22:23], s[22:23], 1
	s_mul_hi_u32 s31, s20, s18
	s_lshl_b32 s14, s15, 1
	s_add_u32 s2, s24, s22
	s_mul_i32 s20, s20, s18
	s_addc_u32 s22, s25, s23
	s_add_i32 s21, s31, s21
	v_add_co_u32 v3, s23, s27, v2
	s_lshl_b64 s[20:21], s[20:21], 1
	v_add_co_ci_u32_e64 v4, null, s26, 0, s23
	s_add_u32 s2, s2, s20
	s_addc_u32 s20, s22, s21
	s_add_u32 s2, s4, s2
	s_addc_u32 s4, s5, s20
	v_add_co_u32 v5, s2, s2, v2
	v_mov_b32_e32 v2, v1
	v_mov_b32_e32 v1, v0
	v_add_co_ci_u32_e64 v6, null, s4, 0, s2
	s_mov_b32 s20, 0
	s_mov_b64 s[4:5], 0
	.p2align	6
.LBB5_3:                                ; =>This Inner Loop Header: Depth=1
	s_delay_alu instid0(SALU_CYCLE_1) | instskip(NEXT) | instid1(VALU_DEP_2)
	v_add_co_u32 v7, vcc_lo, v5, s4
	v_add_co_ci_u32_e32 v8, vcc_lo, s5, v6, vcc_lo
	v_add_co_u32 v1, vcc_lo, v1, s15
	v_add_co_ci_u32_e32 v2, vcc_lo, 0, v2, vcc_lo
	global_load_u16 v9, v[7:8], off
	v_add_co_u32 v7, s2, v3, s4
	v_cmp_lt_u64_e32 vcc_lo, s[18:19], v[1:2]
	v_add_co_ci_u32_e64 v8, s2, s5, v4, s2
	s_add_u32 s4, s4, s14
	s_addc_u32 s5, s5, 0
	s_or_b32 s20, vcc_lo, s20
	s_waitcnt vmcnt(0)
	global_store_b16 v[7:8], v9, off
	s_and_not1_b32 exec_lo, exec_lo, s20
	s_cbranch_execnz .LBB5_3
.LBB5_4:
	s_or_b32 exec_lo, exec_lo, s3
	s_add_u32 s2, s18, 1
	s_addc_u32 s3, 0, 0
	v_add_co_u32 v1, s2, s2, v0
	s_delay_alu instid0(VALU_DEP_1) | instskip(SKIP_1) | instid1(VALU_DEP_1)
	v_add_co_ci_u32_e64 v2, null, s3, 0, s2
	s_mov_b32 s2, exec_lo
	v_cmpx_gt_i64_e64 s[8:9], v[1:2]
	s_cbranch_execz .LBB5_16
; %bb.5:
	s_load_b32 s0, s[0:1], 0x7c
	v_add_co_u32 v3, s1, s18, v0
	s_delay_alu instid0(VALU_DEP_1)
	v_add_co_ci_u32_e64 v4, null, 0, 0, s1
	s_waitcnt lgkmcnt(0)
	s_and_b32 s1, s0, 0xffff
	s_mov_b32 s0, exec_lo
	v_add_co_u32 v5, vcc_lo, v3, s1
	v_add_co_ci_u32_e32 v6, vcc_lo, 0, v4, vcc_lo
	s_delay_alu instid0(VALU_DEP_2) | instskip(NEXT) | instid1(VALU_DEP_2)
	v_add_co_u32 v7, vcc_lo, v5, 1
	v_add_co_ci_u32_e32 v8, vcc_lo, 0, v6, vcc_lo
	s_delay_alu instid0(VALU_DEP_1) | instskip(SKIP_2) | instid1(VALU_DEP_2)
	v_cmp_gt_i64_e32 vcc_lo, s[8:9], v[7:8]
	v_cndmask_b32_e64 v7, v7, s8, vcc_lo
	v_cndmask_b32_e64 v0, v8, s9, vcc_lo
	v_add_co_u32 v7, vcc_lo, v7, -1
	s_delay_alu instid0(VALU_DEP_2) | instskip(NEXT) | instid1(VALU_DEP_1)
	v_add_co_ci_u32_e32 v8, vcc_lo, -1, v0, vcc_lo
	v_cmp_ne_u64_e32 vcc_lo, v[7:8], v[5:6]
	v_cndmask_b32_e64 v0, 0, 1, vcc_lo
	s_delay_alu instid0(VALU_DEP_1) | instskip(SKIP_1) | instid1(VALU_DEP_2)
	v_add_co_u32 v5, vcc_lo, v5, v0
	v_add_co_ci_u32_e32 v6, vcc_lo, 0, v6, vcc_lo
	v_sub_co_u32 v9, vcc_lo, v7, v5
	s_delay_alu instid0(VALU_DEP_2) | instskip(SKIP_1) | instid1(VALU_DEP_1)
	v_sub_co_ci_u32_e32 v6, vcc_lo, v8, v6, vcc_lo
	v_mov_b32_e32 v5, 0
                                        ; implicit-def: $vgpr7_vgpr8
	v_cmpx_ne_u64_e32 0, v[5:6]
	s_xor_b32 s2, exec_lo, s0
	s_cbranch_execz .LBB5_7
; %bb.6:
	v_cvt_f32_u32_e32 v5, s1
	s_sub_u32 s0, 0, s1
	s_subb_u32 s3, 0, 0
	s_delay_alu instid0(VALU_DEP_1) | instskip(NEXT) | instid1(VALU_DEP_1)
	v_fmamk_f32 v5, 0, 0x4f800000, v5
	v_rcp_f32_e32 v5, v5
	s_waitcnt_depctr 0xfff
	v_mul_f32_e32 v5, 0x5f7ffffc, v5
	s_delay_alu instid0(VALU_DEP_1) | instskip(NEXT) | instid1(VALU_DEP_1)
	v_mul_f32_e32 v7, 0x2f800000, v5
	v_trunc_f32_e32 v7, v7
	s_delay_alu instid0(VALU_DEP_1) | instskip(SKIP_1) | instid1(VALU_DEP_2)
	v_fmamk_f32 v5, v7, 0xcf800000, v5
	v_cvt_u32_f32_e32 v7, v7
	v_cvt_u32_f32_e32 v5, v5
	s_delay_alu instid0(VALU_DEP_2) | instskip(NEXT) | instid1(VALU_DEP_2)
	v_mul_lo_u32 v8, s0, v7
	v_mul_hi_u32 v10, s0, v5
	v_mul_lo_u32 v11, s3, v5
	s_delay_alu instid0(VALU_DEP_2) | instskip(SKIP_1) | instid1(VALU_DEP_2)
	v_add_nc_u32_e32 v8, v10, v8
	v_mul_lo_u32 v10, s0, v5
	v_add_nc_u32_e32 v8, v8, v11
	s_delay_alu instid0(VALU_DEP_2) | instskip(NEXT) | instid1(VALU_DEP_2)
	v_mul_hi_u32 v11, v5, v10
	v_mul_lo_u32 v12, v5, v8
	v_mul_hi_u32 v13, v5, v8
	v_mul_hi_u32 v14, v7, v10
	v_mul_lo_u32 v10, v7, v10
	v_mul_hi_u32 v15, v7, v8
	v_mul_lo_u32 v8, v7, v8
	v_add_co_u32 v11, vcc_lo, v11, v12
	v_add_co_ci_u32_e32 v12, vcc_lo, 0, v13, vcc_lo
	s_delay_alu instid0(VALU_DEP_2) | instskip(NEXT) | instid1(VALU_DEP_2)
	v_add_co_u32 v10, vcc_lo, v11, v10
	v_add_co_ci_u32_e32 v10, vcc_lo, v12, v14, vcc_lo
	v_add_co_ci_u32_e32 v11, vcc_lo, 0, v15, vcc_lo
	s_delay_alu instid0(VALU_DEP_2) | instskip(NEXT) | instid1(VALU_DEP_2)
	v_add_co_u32 v8, vcc_lo, v10, v8
	v_add_co_ci_u32_e32 v10, vcc_lo, 0, v11, vcc_lo
	s_delay_alu instid0(VALU_DEP_2) | instskip(NEXT) | instid1(VALU_DEP_2)
	v_add_co_u32 v5, vcc_lo, v5, v8
	v_add_co_ci_u32_e32 v7, vcc_lo, v7, v10, vcc_lo
	s_delay_alu instid0(VALU_DEP_2) | instskip(SKIP_1) | instid1(VALU_DEP_3)
	v_mul_hi_u32 v8, s0, v5
	v_mul_lo_u32 v11, s3, v5
	v_mul_lo_u32 v10, s0, v7
	s_delay_alu instid0(VALU_DEP_1) | instskip(SKIP_1) | instid1(VALU_DEP_2)
	v_add_nc_u32_e32 v8, v8, v10
	v_mul_lo_u32 v10, s0, v5
	v_add_nc_u32_e32 v8, v8, v11
	s_delay_alu instid0(VALU_DEP_2) | instskip(NEXT) | instid1(VALU_DEP_2)
	v_mul_hi_u32 v11, v5, v10
	v_mul_lo_u32 v12, v5, v8
	v_mul_hi_u32 v13, v5, v8
	v_mul_hi_u32 v14, v7, v10
	v_mul_lo_u32 v10, v7, v10
	v_mul_hi_u32 v15, v7, v8
	v_mul_lo_u32 v8, v7, v8
	v_add_co_u32 v11, vcc_lo, v11, v12
	v_add_co_ci_u32_e32 v12, vcc_lo, 0, v13, vcc_lo
	s_delay_alu instid0(VALU_DEP_2) | instskip(NEXT) | instid1(VALU_DEP_2)
	v_add_co_u32 v10, vcc_lo, v11, v10
	v_add_co_ci_u32_e32 v10, vcc_lo, v12, v14, vcc_lo
	v_add_co_ci_u32_e32 v11, vcc_lo, 0, v15, vcc_lo
	s_delay_alu instid0(VALU_DEP_2) | instskip(NEXT) | instid1(VALU_DEP_2)
	v_add_co_u32 v8, vcc_lo, v10, v8
	v_add_co_ci_u32_e32 v10, vcc_lo, 0, v11, vcc_lo
	s_delay_alu instid0(VALU_DEP_2) | instskip(NEXT) | instid1(VALU_DEP_2)
	v_add_co_u32 v5, vcc_lo, v5, v8
	v_add_co_ci_u32_e32 v14, vcc_lo, v7, v10, vcc_lo
	s_delay_alu instid0(VALU_DEP_2) | instskip(SKIP_1) | instid1(VALU_DEP_3)
	v_mul_hi_u32 v15, v9, v5
	v_mad_u64_u32 v[10:11], null, v6, v5, 0
	v_mad_u64_u32 v[7:8], null, v9, v14, 0
	;; [unrolled: 1-line block ×3, first 2 shown]
	s_delay_alu instid0(VALU_DEP_2) | instskip(NEXT) | instid1(VALU_DEP_3)
	v_add_co_u32 v5, vcc_lo, v15, v7
	v_add_co_ci_u32_e32 v7, vcc_lo, 0, v8, vcc_lo
	s_delay_alu instid0(VALU_DEP_2) | instskip(NEXT) | instid1(VALU_DEP_2)
	v_add_co_u32 v5, vcc_lo, v5, v10
	v_add_co_ci_u32_e32 v5, vcc_lo, v7, v11, vcc_lo
	v_add_co_ci_u32_e32 v7, vcc_lo, 0, v13, vcc_lo
	s_delay_alu instid0(VALU_DEP_2) | instskip(NEXT) | instid1(VALU_DEP_2)
	v_add_co_u32 v12, vcc_lo, v5, v12
	v_add_co_ci_u32_e32 v13, vcc_lo, 0, v7, vcc_lo
	s_delay_alu instid0(VALU_DEP_2) | instskip(NEXT) | instid1(VALU_DEP_1)
	v_mad_u64_u32 v[7:8], null, s1, v12, 0
	v_mov_b32_e32 v5, v8
	s_delay_alu instid0(VALU_DEP_1) | instskip(NEXT) | instid1(VALU_DEP_3)
	v_mad_u64_u32 v[10:11], null, s1, v13, v[5:6]
	v_sub_co_u32 v5, vcc_lo, v9, v7
	s_delay_alu instid0(VALU_DEP_2) | instskip(NEXT) | instid1(VALU_DEP_2)
	v_sub_co_ci_u32_e32 v6, vcc_lo, v6, v10, vcc_lo
	v_sub_co_u32 v7, vcc_lo, v5, s1
	s_delay_alu instid0(VALU_DEP_2) | instskip(NEXT) | instid1(VALU_DEP_2)
	v_subrev_co_ci_u32_e32 v8, vcc_lo, 0, v6, vcc_lo
	v_cmp_le_u32_e32 vcc_lo, s1, v7
	v_cmp_eq_u32_e64 s0, 0, v6
	v_cndmask_b32_e64 v7, 0, -1, vcc_lo
	v_add_co_u32 v9, vcc_lo, v12, 2
	v_add_co_ci_u32_e32 v10, vcc_lo, 0, v13, vcc_lo
	v_cmp_le_u32_e32 vcc_lo, s1, v5
	v_cndmask_b32_e64 v5, 0, -1, vcc_lo
	v_cmp_eq_u32_e32 vcc_lo, 0, v8
	s_delay_alu instid0(VALU_DEP_2) | instskip(SKIP_3) | instid1(VALU_DEP_3)
	v_cndmask_b32_e64 v5, -1, v5, s0
	v_cndmask_b32_e32 v7, -1, v7, vcc_lo
	v_add_co_u32 v8, vcc_lo, v12, 1
	v_add_co_ci_u32_e32 v11, vcc_lo, 0, v13, vcc_lo
	v_cmp_ne_u32_e32 vcc_lo, 0, v7
	s_delay_alu instid0(VALU_DEP_2) | instskip(SKIP_1) | instid1(VALU_DEP_2)
	v_dual_cndmask_b32 v6, v11, v10 :: v_dual_cndmask_b32 v7, v8, v9
	v_cmp_ne_u32_e32 vcc_lo, 0, v5
                                        ; implicit-def: $vgpr9
	v_dual_cndmask_b32 v8, v13, v6 :: v_dual_cndmask_b32 v7, v12, v7
.LBB5_7:
	s_and_not1_saveexec_b32 s0, s2
	s_cbranch_execz .LBB5_9
; %bb.8:
	v_cvt_f32_u32_e32 v5, s1
	s_sub_i32 s2, 0, s1
	s_delay_alu instid0(VALU_DEP_1) | instskip(SKIP_2) | instid1(VALU_DEP_1)
	v_rcp_iflag_f32_e32 v5, v5
	s_waitcnt_depctr 0xfff
	v_mul_f32_e32 v5, 0x4f7ffffe, v5
	v_cvt_u32_f32_e32 v5, v5
	s_delay_alu instid0(VALU_DEP_1) | instskip(NEXT) | instid1(VALU_DEP_1)
	v_mul_lo_u32 v6, s2, v5
	v_mul_hi_u32 v6, v5, v6
	s_delay_alu instid0(VALU_DEP_1) | instskip(NEXT) | instid1(VALU_DEP_1)
	v_add_nc_u32_e32 v5, v5, v6
	v_mul_hi_u32 v5, v9, v5
	s_delay_alu instid0(VALU_DEP_1) | instskip(SKIP_1) | instid1(VALU_DEP_2)
	v_mul_lo_u32 v6, v5, s1
	v_add_nc_u32_e32 v7, 1, v5
	v_sub_nc_u32_e32 v6, v9, v6
	s_delay_alu instid0(VALU_DEP_1) | instskip(SKIP_1) | instid1(VALU_DEP_2)
	v_subrev_nc_u32_e32 v8, s1, v6
	v_cmp_le_u32_e32 vcc_lo, s1, v6
	v_cndmask_b32_e32 v6, v6, v8, vcc_lo
	v_dual_mov_b32 v8, 0 :: v_dual_cndmask_b32 v5, v5, v7
	s_delay_alu instid0(VALU_DEP_2) | instskip(NEXT) | instid1(VALU_DEP_2)
	v_cmp_le_u32_e32 vcc_lo, s1, v6
	v_add_nc_u32_e32 v7, 1, v5
	s_delay_alu instid0(VALU_DEP_1)
	v_cndmask_b32_e32 v7, v5, v7, vcc_lo
.LBB5_9:
	s_or_b32 exec_lo, exec_lo, s0
	s_delay_alu instid0(VALU_DEP_1) | instskip(SKIP_2) | instid1(VALU_DEP_3)
	v_add_co_u32 v0, vcc_lo, v7, v0
	v_add_co_ci_u32_e32 v6, vcc_lo, 0, v8, vcc_lo
	v_cmp_eq_u16_e64 s0, s1, 1
	v_add_co_u32 v5, vcc_lo, v0, 1
	s_delay_alu instid0(VALU_DEP_3) | instskip(NEXT) | instid1(VALU_DEP_1)
	v_add_co_ci_u32_e32 v6, vcc_lo, 0, v6, vcc_lo
	v_cmp_lt_u64_e32 vcc_lo, 1, v[5:6]
	s_delay_alu instid0(VALU_DEP_4)
	s_and_b32 s3, vcc_lo, s0
	s_mov_b32 s0, -1
	s_and_saveexec_b32 s2, s3
	s_cbranch_execz .LBB5_13
; %bb.10:
	s_lshl_b64 s[4:5], s[10:11], 1
	v_lshlrev_b64 v[7:8], 1, v[3:4]
	s_add_u32 s0, s6, s4
	s_addc_u32 s3, s7, s5
	s_lshl_b64 s[4:5], s[12:13], 1
	v_dual_mov_b32 v4, v6 :: v_dual_and_b32 v3, -2, v5
	s_add_u32 s0, s0, s4
	s_addc_u32 s3, s3, s5
	s_lshl_b64 s[4:5], s[16:17], 1
	s_delay_alu instid0(SALU_CYCLE_1) | instskip(SKIP_4) | instid1(VALU_DEP_3)
	s_add_u32 s0, s0, s4
	s_addc_u32 s3, s3, s5
	v_add_co_u32 v0, vcc_lo, s0, v7
	v_add_co_ci_u32_e32 v8, vcc_lo, s3, v8, vcc_lo
	v_mov_b32_e32 v10, v4
	v_add_co_u32 v7, vcc_lo, v0, 2
	s_delay_alu instid0(VALU_DEP_3)
	v_add_co_ci_u32_e32 v8, vcc_lo, 0, v8, vcc_lo
	v_dual_mov_b32 v0, 0 :: v_dual_mov_b32 v9, v3
	s_lshl_b32 s4, s1, 2
	s_mov_b32 s3, 0
.LBB5_11:                               ; =>This Inner Loop Header: Depth=1
	s_delay_alu instid0(VALU_DEP_1)
	v_add_co_u32 v9, vcc_lo, v9, -2
	v_add_co_ci_u32_e32 v10, vcc_lo, -1, v10, vcc_lo
	global_store_b32 v[7:8], v0, off
	v_add_co_u32 v7, s0, v7, s4
	v_cmp_eq_u64_e32 vcc_lo, 0, v[9:10]
	v_add_co_ci_u32_e64 v8, s0, 0, v8, s0
	s_or_b32 s3, vcc_lo, s3
	s_delay_alu instid0(SALU_CYCLE_1)
	s_and_not1_b32 exec_lo, exec_lo, s3
	s_cbranch_execnz .LBB5_11
; %bb.12:
	s_or_b32 exec_lo, exec_lo, s3
	v_mad_u64_u32 v[7:8], null, v3, s1, v[1:2]
	v_cmp_ne_u64_e32 vcc_lo, v[5:6], v[3:4]
	s_or_not1_b32 s0, vcc_lo, exec_lo
	s_delay_alu instid0(VALU_DEP_2) | instskip(NEXT) | instid1(VALU_DEP_1)
	v_mov_b32_e32 v0, v8
	v_mad_u64_u32 v[1:2], null, v4, s1, v[0:1]
	s_delay_alu instid0(VALU_DEP_1) | instskip(NEXT) | instid1(VALU_DEP_1)
	v_mov_b32_e32 v8, v1
	v_dual_mov_b32 v1, v7 :: v_dual_mov_b32 v2, v8
.LBB5_13:
	s_or_b32 exec_lo, exec_lo, s2
	s_delay_alu instid0(SALU_CYCLE_1)
	s_and_b32 exec_lo, exec_lo, s0
	s_cbranch_execz .LBB5_16
; %bb.14:
	s_lshl_b64 s[2:3], s[16:17], 1
	s_lshl_b64 s[4:5], s[12:13], 1
	v_lshlrev_b64 v[3:4], 1, v[1:2]
	s_add_u32 s0, s2, s4
	s_addc_u32 s4, s3, s5
	s_lshl_b64 s[2:3], s[10:11], 1
	v_mov_b32_e32 v0, 0
	s_add_u32 s0, s0, s2
	s_addc_u32 s2, s4, s3
	s_add_u32 s0, s6, s0
	s_addc_u32 s2, s7, s2
	v_add_co_u32 v3, vcc_lo, s0, v3
	v_add_co_ci_u32_e32 v4, vcc_lo, s2, v4, vcc_lo
	s_lshl_b32 s2, s1, 1
	s_mov_b32 s3, 0
.LBB5_15:                               ; =>This Inner Loop Header: Depth=1
	v_add_co_u32 v1, vcc_lo, v1, s1
	v_add_co_ci_u32_e32 v2, vcc_lo, 0, v2, vcc_lo
	global_store_b16 v[3:4], v0, off
	v_add_co_u32 v3, s0, v3, s2
	v_cmp_le_i64_e32 vcc_lo, s[8:9], v[1:2]
	v_add_co_ci_u32_e64 v4, s0, 0, v4, s0
	s_or_b32 s3, vcc_lo, s3
	s_delay_alu instid0(SALU_CYCLE_1)
	s_and_not1_b32 exec_lo, exec_lo, s3
	s_cbranch_execnz .LBB5_15
.LBB5_16:
	s_nop 0
	s_sendmsg sendmsg(MSG_DEALLOC_VGPRS)
	s_endpgm
	.section	.rodata,"a",@progbits
	.p2align	6, 0x0
	.amdhsa_kernel _ZL10tri_kernelI6__halfLb1ELi1EEvPKT_PS1_llllllllllll
		.amdhsa_group_segment_fixed_size 0
		.amdhsa_private_segment_fixed_size 0
		.amdhsa_kernarg_size 368
		.amdhsa_user_sgpr_count 13
		.amdhsa_user_sgpr_dispatch_ptr 0
		.amdhsa_user_sgpr_queue_ptr 0
		.amdhsa_user_sgpr_kernarg_segment_ptr 1
		.amdhsa_user_sgpr_dispatch_id 0
		.amdhsa_user_sgpr_private_segment_size 0
		.amdhsa_wavefront_size32 1
		.amdhsa_uses_dynamic_stack 0
		.amdhsa_enable_private_segment 0
		.amdhsa_system_sgpr_workgroup_id_x 1
		.amdhsa_system_sgpr_workgroup_id_y 1
		.amdhsa_system_sgpr_workgroup_id_z 1
		.amdhsa_system_sgpr_workgroup_info 0
		.amdhsa_system_vgpr_workitem_id 0
		.amdhsa_next_free_vgpr 16
		.amdhsa_next_free_sgpr 32
		.amdhsa_reserve_vcc 1
		.amdhsa_float_round_mode_32 0
		.amdhsa_float_round_mode_16_64 0
		.amdhsa_float_denorm_mode_32 3
		.amdhsa_float_denorm_mode_16_64 3
		.amdhsa_dx10_clamp 1
		.amdhsa_ieee_mode 1
		.amdhsa_fp16_overflow 0
		.amdhsa_workgroup_processor_mode 1
		.amdhsa_memory_ordered 1
		.amdhsa_forward_progress 0
		.amdhsa_shared_vgpr_count 0
		.amdhsa_exception_fp_ieee_invalid_op 0
		.amdhsa_exception_fp_denorm_src 0
		.amdhsa_exception_fp_ieee_div_zero 0
		.amdhsa_exception_fp_ieee_overflow 0
		.amdhsa_exception_fp_ieee_underflow 0
		.amdhsa_exception_fp_ieee_inexact 0
		.amdhsa_exception_int_div_zero 0
	.end_amdhsa_kernel
	.section	.text._ZL10tri_kernelI6__halfLb1ELi1EEvPKT_PS1_llllllllllll,"axG",@progbits,_ZL10tri_kernelI6__halfLb1ELi1EEvPKT_PS1_llllllllllll,comdat
.Lfunc_end5:
	.size	_ZL10tri_kernelI6__halfLb1ELi1EEvPKT_PS1_llllllllllll, .Lfunc_end5-_ZL10tri_kernelI6__halfLb1ELi1EEvPKT_PS1_llllllllllll
                                        ; -- End function
	.section	.AMDGPU.csdata,"",@progbits
; Kernel info:
; codeLenInByte = 1960
; NumSgprs: 34
; NumVgprs: 16
; ScratchSize: 0
; MemoryBound: 0
; FloatMode: 240
; IeeeMode: 1
; LDSByteSize: 0 bytes/workgroup (compile time only)
; SGPRBlocks: 4
; VGPRBlocks: 1
; NumSGPRsForWavesPerEU: 34
; NumVGPRsForWavesPerEU: 16
; Occupancy: 16
; WaveLimiterHint : 0
; COMPUTE_PGM_RSRC2:SCRATCH_EN: 0
; COMPUTE_PGM_RSRC2:USER_SGPR: 13
; COMPUTE_PGM_RSRC2:TRAP_HANDLER: 0
; COMPUTE_PGM_RSRC2:TGID_X_EN: 1
; COMPUTE_PGM_RSRC2:TGID_Y_EN: 1
; COMPUTE_PGM_RSRC2:TGID_Z_EN: 1
; COMPUTE_PGM_RSRC2:TIDIG_COMP_CNT: 0
	.section	.text._ZL10tri_kernelI6__halfLb0ELi0EEvPKT_PS1_llllllllllll,"axG",@progbits,_ZL10tri_kernelI6__halfLb0ELi0EEvPKT_PS1_llllllllllll,comdat
	.globl	_ZL10tri_kernelI6__halfLb0ELi0EEvPKT_PS1_llllllllllll ; -- Begin function _ZL10tri_kernelI6__halfLb0ELi0EEvPKT_PS1_llllllllllll
	.p2align	8
	.type	_ZL10tri_kernelI6__halfLb0ELi0EEvPKT_PS1_llllllllllll,@function
_ZL10tri_kernelI6__halfLb0ELi0EEvPKT_PS1_llllllllllll: ; @_ZL10tri_kernelI6__halfLb0ELi0EEvPKT_PS1_llllllllllll
; %bb.0:
	s_clause 0x1
	s_load_b128 s[16:19], s[0:1], 0x20
	s_load_b256 s[4:11], s[0:1], 0x0
	s_mov_b32 s25, 0
	s_mov_b32 s24, s15
	;; [unrolled: 1-line block ×5, first 2 shown]
	s_waitcnt lgkmcnt(0)
	v_cmp_ge_i64_e64 s2, s[24:25], s[18:19]
	v_cmp_ge_i64_e64 s3, s[14:15], s[16:17]
	;; [unrolled: 1-line block ×3, first 2 shown]
	s_delay_alu instid0(VALU_DEP_2)
	s_or_b32 s2, s3, s2
	s_delay_alu instid0(VALU_DEP_1) | instid1(SALU_CYCLE_1)
	s_or_b32 s2, s10, s2
	s_delay_alu instid0(SALU_CYCLE_1)
	s_and_b32 vcc_lo, exec_lo, s2
	s_cbranch_vccnz .LBB6_16
; %bb.1:
	s_clause 0x1
	s_load_b128 s[16:19], s[0:1], 0x58
	s_load_b64 s[2:3], s[0:1], 0x68
	v_mov_b32_e32 v1, 0
	s_delay_alu instid0(VALU_DEP_1)
	v_dual_mov_b32 v3, v1 :: v_dual_mov_b32 v2, v0
	s_waitcnt lgkmcnt(0)
	s_mul_i32 s11, s14, s19
	s_mul_hi_u32 s15, s14, s18
	s_mul_i32 s10, s14, s18
	s_mul_i32 s3, s24, s3
	s_mul_hi_u32 s18, s24, s2
	s_add_i32 s11, s15, s11
	s_add_i32 s19, s18, s3
	s_mul_i32 s18, s24, s2
	s_mov_b32 s3, exec_lo
	v_cmpx_gt_u32_e64 s12, v0
	s_cbranch_execz .LBB6_13
; %bb.2:
	s_load_b32 s2, s[0:1], 0x7c
	s_waitcnt lgkmcnt(0)
	s_and_b32 s15, s2, 0xffff
	s_delay_alu instid0(SALU_CYCLE_1) | instskip(NEXT) | instid1(VALU_DEP_1)
	v_add_co_u32 v4, s2, v0, s15
	v_add_co_ci_u32_e64 v5, null, 0, 0, s2
	s_delay_alu instid0(VALU_DEP_1) | instskip(SKIP_1) | instid1(VALU_DEP_2)
	v_cmp_gt_u64_e64 s2, s[12:13], v[4:5]
	v_cmp_lt_u64_e32 vcc_lo, s[12:13], v[4:5]
	v_cndmask_b32_e64 v8, 0, 1, s2
	v_cndmask_b32_e32 v6, 0, v5, vcc_lo
	v_cndmask_b32_e32 v7, s12, v4, vcc_lo
	s_mov_b32 s2, exec_lo
	s_delay_alu instid0(VALU_DEP_3) | instskip(SKIP_1) | instid1(VALU_DEP_2)
	v_add_co_u32 v4, vcc_lo, v4, v8
	v_add_co_ci_u32_e32 v5, vcc_lo, 0, v5, vcc_lo
	v_sub_co_u32 v9, vcc_lo, v7, v4
	v_mov_b32_e32 v4, v1
	s_delay_alu instid0(VALU_DEP_3) | instskip(NEXT) | instid1(VALU_DEP_1)
	v_sub_co_ci_u32_e32 v5, vcc_lo, v6, v5, vcc_lo
                                        ; implicit-def: $vgpr6_vgpr7
	v_cmpx_ne_u64_e32 0, v[4:5]
	s_xor_b32 s20, exec_lo, s2
	s_cbranch_execz .LBB6_4
; %bb.3:
	v_cvt_f32_u32_e32 v4, s15
	s_sub_u32 s2, 0, s15
	s_subb_u32 s21, 0, 0
	s_delay_alu instid0(VALU_DEP_1) | instskip(NEXT) | instid1(VALU_DEP_1)
	v_fmamk_f32 v4, 0, 0x4f800000, v4
	v_rcp_f32_e32 v4, v4
	s_waitcnt_depctr 0xfff
	v_mul_f32_e32 v4, 0x5f7ffffc, v4
	s_delay_alu instid0(VALU_DEP_1) | instskip(NEXT) | instid1(VALU_DEP_1)
	v_mul_f32_e32 v6, 0x2f800000, v4
	v_trunc_f32_e32 v6, v6
	s_delay_alu instid0(VALU_DEP_1) | instskip(SKIP_1) | instid1(VALU_DEP_2)
	v_fmamk_f32 v4, v6, 0xcf800000, v4
	v_cvt_u32_f32_e32 v6, v6
	v_cvt_u32_f32_e32 v4, v4
	s_delay_alu instid0(VALU_DEP_2) | instskip(NEXT) | instid1(VALU_DEP_2)
	v_mul_lo_u32 v7, s2, v6
	v_mul_hi_u32 v10, s2, v4
	v_mul_lo_u32 v11, s21, v4
	s_delay_alu instid0(VALU_DEP_2) | instskip(SKIP_1) | instid1(VALU_DEP_2)
	v_add_nc_u32_e32 v7, v10, v7
	v_mul_lo_u32 v10, s2, v4
	v_add_nc_u32_e32 v7, v7, v11
	s_delay_alu instid0(VALU_DEP_2) | instskip(NEXT) | instid1(VALU_DEP_2)
	v_mul_hi_u32 v11, v4, v10
	v_mul_lo_u32 v12, v4, v7
	v_mul_hi_u32 v13, v4, v7
	v_mul_hi_u32 v14, v6, v10
	v_mul_lo_u32 v10, v6, v10
	v_mul_hi_u32 v15, v6, v7
	v_mul_lo_u32 v7, v6, v7
	v_add_co_u32 v11, vcc_lo, v11, v12
	v_add_co_ci_u32_e32 v12, vcc_lo, 0, v13, vcc_lo
	s_delay_alu instid0(VALU_DEP_2) | instskip(NEXT) | instid1(VALU_DEP_2)
	v_add_co_u32 v10, vcc_lo, v11, v10
	v_add_co_ci_u32_e32 v10, vcc_lo, v12, v14, vcc_lo
	v_add_co_ci_u32_e32 v11, vcc_lo, 0, v15, vcc_lo
	s_delay_alu instid0(VALU_DEP_2) | instskip(NEXT) | instid1(VALU_DEP_2)
	v_add_co_u32 v7, vcc_lo, v10, v7
	v_add_co_ci_u32_e32 v10, vcc_lo, 0, v11, vcc_lo
	s_delay_alu instid0(VALU_DEP_2) | instskip(NEXT) | instid1(VALU_DEP_2)
	v_add_co_u32 v4, vcc_lo, v4, v7
	v_add_co_ci_u32_e32 v6, vcc_lo, v6, v10, vcc_lo
	s_delay_alu instid0(VALU_DEP_2) | instskip(SKIP_1) | instid1(VALU_DEP_3)
	v_mul_hi_u32 v7, s2, v4
	v_mul_lo_u32 v11, s21, v4
	v_mul_lo_u32 v10, s2, v6
	s_delay_alu instid0(VALU_DEP_1) | instskip(SKIP_1) | instid1(VALU_DEP_2)
	v_add_nc_u32_e32 v7, v7, v10
	v_mul_lo_u32 v10, s2, v4
	v_add_nc_u32_e32 v7, v7, v11
	s_delay_alu instid0(VALU_DEP_2) | instskip(NEXT) | instid1(VALU_DEP_2)
	v_mul_hi_u32 v11, v4, v10
	v_mul_lo_u32 v12, v4, v7
	v_mul_hi_u32 v13, v4, v7
	v_mul_hi_u32 v14, v6, v10
	v_mul_lo_u32 v10, v6, v10
	v_mul_hi_u32 v15, v6, v7
	v_mul_lo_u32 v7, v6, v7
	v_add_co_u32 v11, vcc_lo, v11, v12
	v_add_co_ci_u32_e32 v12, vcc_lo, 0, v13, vcc_lo
	s_delay_alu instid0(VALU_DEP_2) | instskip(NEXT) | instid1(VALU_DEP_2)
	v_add_co_u32 v10, vcc_lo, v11, v10
	v_add_co_ci_u32_e32 v10, vcc_lo, v12, v14, vcc_lo
	v_add_co_ci_u32_e32 v11, vcc_lo, 0, v15, vcc_lo
	s_delay_alu instid0(VALU_DEP_2) | instskip(NEXT) | instid1(VALU_DEP_2)
	v_add_co_u32 v7, vcc_lo, v10, v7
	v_add_co_ci_u32_e32 v10, vcc_lo, 0, v11, vcc_lo
	s_delay_alu instid0(VALU_DEP_2) | instskip(NEXT) | instid1(VALU_DEP_2)
	v_add_co_u32 v4, vcc_lo, v4, v7
	v_add_co_ci_u32_e32 v14, vcc_lo, v6, v10, vcc_lo
	s_delay_alu instid0(VALU_DEP_2) | instskip(SKIP_1) | instid1(VALU_DEP_3)
	v_mul_hi_u32 v15, v9, v4
	v_mad_u64_u32 v[10:11], null, v5, v4, 0
	v_mad_u64_u32 v[6:7], null, v9, v14, 0
	v_mad_u64_u32 v[12:13], null, v5, v14, 0
	s_delay_alu instid0(VALU_DEP_2) | instskip(NEXT) | instid1(VALU_DEP_3)
	v_add_co_u32 v4, vcc_lo, v15, v6
	v_add_co_ci_u32_e32 v6, vcc_lo, 0, v7, vcc_lo
	s_delay_alu instid0(VALU_DEP_2) | instskip(NEXT) | instid1(VALU_DEP_2)
	v_add_co_u32 v4, vcc_lo, v4, v10
	v_add_co_ci_u32_e32 v4, vcc_lo, v6, v11, vcc_lo
	v_add_co_ci_u32_e32 v6, vcc_lo, 0, v13, vcc_lo
	s_delay_alu instid0(VALU_DEP_2) | instskip(NEXT) | instid1(VALU_DEP_2)
	v_add_co_u32 v12, vcc_lo, v4, v12
	v_add_co_ci_u32_e32 v13, vcc_lo, 0, v6, vcc_lo
	s_delay_alu instid0(VALU_DEP_2) | instskip(NEXT) | instid1(VALU_DEP_1)
	v_mad_u64_u32 v[6:7], null, s15, v12, 0
	v_mov_b32_e32 v4, v7
	s_delay_alu instid0(VALU_DEP_1) | instskip(NEXT) | instid1(VALU_DEP_3)
	v_mad_u64_u32 v[10:11], null, s15, v13, v[4:5]
	v_sub_co_u32 v4, vcc_lo, v9, v6
	s_delay_alu instid0(VALU_DEP_2) | instskip(NEXT) | instid1(VALU_DEP_2)
	v_sub_co_ci_u32_e32 v5, vcc_lo, v5, v10, vcc_lo
	v_sub_co_u32 v6, vcc_lo, v4, s15
	s_delay_alu instid0(VALU_DEP_2) | instskip(NEXT) | instid1(VALU_DEP_2)
	v_subrev_co_ci_u32_e32 v7, vcc_lo, 0, v5, vcc_lo
	v_cmp_le_u32_e32 vcc_lo, s15, v6
	v_cmp_eq_u32_e64 s2, 0, v5
	v_cndmask_b32_e64 v6, 0, -1, vcc_lo
	v_add_co_u32 v9, vcc_lo, v12, 2
	v_add_co_ci_u32_e32 v10, vcc_lo, 0, v13, vcc_lo
	v_cmp_le_u32_e32 vcc_lo, s15, v4
	v_cndmask_b32_e64 v4, 0, -1, vcc_lo
	v_cmp_eq_u32_e32 vcc_lo, 0, v7
	s_delay_alu instid0(VALU_DEP_2) | instskip(SKIP_3) | instid1(VALU_DEP_3)
	v_cndmask_b32_e64 v4, -1, v4, s2
	v_cndmask_b32_e32 v6, -1, v6, vcc_lo
	v_add_co_u32 v7, vcc_lo, v12, 1
	v_add_co_ci_u32_e32 v11, vcc_lo, 0, v13, vcc_lo
	v_cmp_ne_u32_e32 vcc_lo, 0, v6
	s_delay_alu instid0(VALU_DEP_2) | instskip(NEXT) | instid1(VALU_DEP_4)
	v_cndmask_b32_e32 v5, v11, v10, vcc_lo
	v_cndmask_b32_e32 v6, v7, v9, vcc_lo
	v_cmp_ne_u32_e32 vcc_lo, 0, v4
                                        ; implicit-def: $vgpr9
	s_delay_alu instid0(VALU_DEP_2)
	v_dual_cndmask_b32 v7, v13, v5 :: v_dual_cndmask_b32 v6, v12, v6
.LBB6_4:
	s_and_not1_saveexec_b32 s2, s20
	s_cbranch_execz .LBB6_6
; %bb.5:
	v_cvt_f32_u32_e32 v4, s15
	s_sub_i32 s20, 0, s15
	s_delay_alu instid0(VALU_DEP_1) | instskip(SKIP_2) | instid1(VALU_DEP_1)
	v_rcp_iflag_f32_e32 v4, v4
	s_waitcnt_depctr 0xfff
	v_mul_f32_e32 v4, 0x4f7ffffe, v4
	v_cvt_u32_f32_e32 v4, v4
	s_delay_alu instid0(VALU_DEP_1) | instskip(NEXT) | instid1(VALU_DEP_1)
	v_mul_lo_u32 v5, s20, v4
	v_mul_hi_u32 v5, v4, v5
	s_delay_alu instid0(VALU_DEP_1) | instskip(NEXT) | instid1(VALU_DEP_1)
	v_add_nc_u32_e32 v4, v4, v5
	v_mul_hi_u32 v4, v9, v4
	s_delay_alu instid0(VALU_DEP_1) | instskip(SKIP_1) | instid1(VALU_DEP_2)
	v_mul_lo_u32 v5, v4, s15
	v_add_nc_u32_e32 v6, 1, v4
	v_sub_nc_u32_e32 v5, v9, v5
	s_delay_alu instid0(VALU_DEP_1) | instskip(SKIP_1) | instid1(VALU_DEP_2)
	v_subrev_nc_u32_e32 v7, s15, v5
	v_cmp_le_u32_e32 vcc_lo, s15, v5
	v_cndmask_b32_e32 v5, v5, v7, vcc_lo
	v_dual_mov_b32 v7, 0 :: v_dual_cndmask_b32 v4, v4, v6
	s_delay_alu instid0(VALU_DEP_2) | instskip(NEXT) | instid1(VALU_DEP_2)
	v_cmp_le_u32_e32 vcc_lo, s15, v5
	v_add_nc_u32_e32 v6, 1, v4
	s_delay_alu instid0(VALU_DEP_1)
	v_cndmask_b32_e32 v6, v4, v6, vcc_lo
.LBB6_6:
	s_or_b32 exec_lo, exec_lo, s2
	s_delay_alu instid0(VALU_DEP_1) | instskip(SKIP_2) | instid1(VALU_DEP_3)
	v_add_co_u32 v4, vcc_lo, v6, v8
	v_add_co_ci_u32_e32 v5, vcc_lo, 0, v7, vcc_lo
	v_cmp_eq_u16_e64 s2, s15, 1
	v_add_co_u32 v6, vcc_lo, v4, 1
	s_delay_alu instid0(VALU_DEP_3) | instskip(SKIP_3) | instid1(VALU_DEP_1)
	v_add_co_ci_u32_e32 v7, vcc_lo, 0, v5, vcc_lo
	s_mul_i32 s20, s12, s17
	s_mul_hi_u32 s21, s12, s16
	s_mul_i32 s26, s12, s16
	v_cmp_lt_u64_e32 vcc_lo, 15, v[6:7]
	s_add_i32 s27, s21, s20
	s_and_b32 s20, vcc_lo, s2
	s_mov_b32 s2, -1
	s_and_saveexec_b32 s25, s20
	s_cbranch_execz .LBB6_10
; %bb.7:
	s_lshl_b64 s[20:21], s[26:27], 1
	v_dual_mov_b32 v9, v7 :: v_dual_and_b32 v8, -16, v6
	s_add_u32 s2, s6, s20
	s_addc_u32 s22, s7, s21
	s_lshl_b64 s[20:21], s[10:11], 1
	s_delay_alu instid0(SALU_CYCLE_1)
	s_add_u32 s2, s2, s20
	s_addc_u32 s22, s22, s21
	s_lshl_b64 s[20:21], s[18:19], 1
	v_mov_b32_e32 v13, v9
	s_add_u32 s2, s2, s20
	s_mov_b32 s20, 0
	s_addc_u32 s28, s22, s21
	s_mov_b32 s21, s20
	s_mov_b32 s22, s20
	;; [unrolled: 1-line block ×3, first 2 shown]
	v_lshlrev_b32_e32 v2, 1, v0
	v_mov_b32_e32 v12, v8
	s_delay_alu instid0(VALU_DEP_2)
	v_add_co_u32 v10, s2, s2, v2
	v_dual_mov_b32 v2, s20 :: v_dual_mov_b32 v5, s23
	v_mov_b32_e32 v4, s22
	v_add_co_ci_u32_e64 v11, null, s28, 0, s2
	v_mov_b32_e32 v3, s21
	s_lshl_b32 s21, s15, 5
.LBB6_8:                                ; =>This Inner Loop Header: Depth=1
	v_add_co_u32 v12, vcc_lo, v12, -16
	v_add_co_ci_u32_e32 v13, vcc_lo, -1, v13, vcc_lo
	s_clause 0x1
	global_store_b128 v[10:11], v[2:5], off
	global_store_b128 v[10:11], v[2:5], off offset:16
	v_add_co_u32 v10, s2, v10, s21
	v_cmp_eq_u64_e32 vcc_lo, 0, v[12:13]
	v_add_co_ci_u32_e64 v11, s2, 0, v11, s2
	s_or_b32 s20, vcc_lo, s20
	s_delay_alu instid0(SALU_CYCLE_1)
	s_and_not1_b32 exec_lo, exec_lo, s20
	s_cbranch_execnz .LBB6_8
; %bb.9:
	s_or_b32 exec_lo, exec_lo, s20
	v_mad_u64_u32 v[2:3], null, v8, s15, v[0:1]
	v_cmp_ne_u64_e32 vcc_lo, v[6:7], v[8:9]
	s_or_not1_b32 s2, vcc_lo, exec_lo
	s_delay_alu instid0(VALU_DEP_2) | instskip(NEXT) | instid1(VALU_DEP_1)
	v_mov_b32_e32 v1, v3
	v_mad_u64_u32 v[3:4], null, v9, s15, v[1:2]
                                        ; kill: def $vgpr1 killed $sgpr0 killed $exec
.LBB6_10:
	s_or_b32 exec_lo, exec_lo, s25
	s_delay_alu instid0(SALU_CYCLE_1)
	s_and_b32 exec_lo, exec_lo, s2
	s_cbranch_execz .LBB6_13
; %bb.11:
	s_lshl_b64 s[20:21], s[18:19], 1
	s_lshl_b64 s[22:23], s[10:11], 1
	s_delay_alu instid0(VALU_DEP_1)
	v_lshlrev_b64 v[4:5], 1, v[2:3]
	s_add_u32 s2, s20, s22
	s_addc_u32 s22, s21, s23
	s_lshl_b64 s[20:21], s[26:27], 1
	v_mov_b32_e32 v1, 0
	s_add_u32 s2, s2, s20
	s_addc_u32 s20, s22, s21
	s_add_u32 s2, s6, s2
	s_addc_u32 s20, s7, s20
	v_add_co_u32 v4, vcc_lo, s2, v4
	v_add_co_ci_u32_e32 v5, vcc_lo, s20, v5, vcc_lo
	s_lshl_b32 s20, s15, 1
	s_mov_b32 s21, 0
.LBB6_12:                               ; =>This Inner Loop Header: Depth=1
	v_add_co_u32 v2, vcc_lo, v2, s15
	v_add_co_ci_u32_e32 v3, vcc_lo, 0, v3, vcc_lo
	global_store_b16 v[4:5], v1, off
	v_add_co_u32 v4, s2, v4, s20
	v_cmp_le_u64_e32 vcc_lo, s[12:13], v[2:3]
	v_add_co_ci_u32_e64 v5, s2, 0, v5, s2
	s_or_b32 s21, vcc_lo, s21
	s_delay_alu instid0(SALU_CYCLE_1)
	s_and_not1_b32 exec_lo, exec_lo, s21
	s_cbranch_execnz .LBB6_12
.LBB6_13:
	s_or_b32 exec_lo, exec_lo, s3
	v_add_co_u32 v1, s2, v0, s12
	s_delay_alu instid0(VALU_DEP_1) | instskip(SKIP_1) | instid1(VALU_DEP_1)
	v_add_co_ci_u32_e64 v2, null, 0, 0, s2
	s_mov_b32 s2, exec_lo
	v_cmpx_gt_i64_e64 s[8:9], v[1:2]
	s_cbranch_execz .LBB6_16
; %bb.14:
	s_clause 0x2
	s_load_b32 s13, s[0:1], 0x7c
	s_load_b64 s[20:21], s[0:1], 0x48
	s_load_b128 s[0:3], s[0:1], 0x38
	s_lshl_b64 s[18:19], s[18:19], 1
	s_lshl_b64 s[22:23], s[10:11], 1
	v_lshlrev_b32_e32 v4, 1, v0
	s_waitcnt lgkmcnt(0)
	s_and_b32 s10, s13, 0xffff
	s_add_u32 s18, s18, s22
	s_addc_u32 s19, s19, s23
	s_lshl_b64 s[16:17], s[16:17], 1
	s_mul_i32 s3, s3, s14
	s_mul_hi_u32 s15, s2, s14
	s_mul_i32 s2, s2, s14
	s_add_u32 s14, s16, 2
	s_addc_u32 s16, s17, 0
	s_mul_hi_u32 s17, s14, s12
	s_mul_i32 s16, s16, s12
	s_mul_i32 s14, s14, s12
	s_add_i32 s17, s17, s16
	s_add_u32 s14, s18, s14
	s_mul_i32 s11, s21, s24
	s_mul_hi_u32 s13, s20, s24
	s_addc_u32 s16, s19, s17
	s_add_u32 s17, s6, s14
	s_mul_i32 s20, s20, s24
	s_addc_u32 s7, s7, s16
	s_add_i32 s21, s13, s11
	s_add_i32 s3, s15, s3
	s_lshl_b64 s[14:15], s[20:21], 1
	s_lshl_b64 s[2:3], s[2:3], 1
	s_lshl_b32 s6, s10, 1
	s_add_u32 s2, s14, s2
	s_addc_u32 s3, s15, s3
	s_lshl_b64 s[0:1], s[0:1], 1
	v_add_co_u32 v0, s11, s17, v4
	s_add_u32 s0, s0, 2
	s_addc_u32 s1, s1, 0
	v_add_co_ci_u32_e64 v3, null, s7, 0, s11
	s_mul_hi_u32 s7, s0, s12
	s_mul_i32 s1, s1, s12
	s_mul_i32 s0, s0, s12
	s_add_i32 s7, s7, s1
	s_add_u32 s0, s2, s0
	s_addc_u32 s1, s3, s7
	s_add_u32 s0, s4, s0
	s_addc_u32 s1, s5, s1
	v_add_co_u32 v4, s0, s0, v4
	s_delay_alu instid0(VALU_DEP_1)
	v_add_co_ci_u32_e64 v5, null, s1, 0, s0
	s_mov_b32 s1, 0
	s_mov_b64 s[2:3], 0
	.p2align	6
.LBB6_15:                               ; =>This Inner Loop Header: Depth=1
	s_delay_alu instid0(VALU_DEP_2) | instid1(SALU_CYCLE_1)
	v_add_co_u32 v6, vcc_lo, v4, s2
	s_delay_alu instid0(VALU_DEP_2)
	v_add_co_ci_u32_e32 v7, vcc_lo, s3, v5, vcc_lo
	v_add_co_u32 v1, vcc_lo, v1, s10
	v_add_co_ci_u32_e32 v2, vcc_lo, 0, v2, vcc_lo
	global_load_u16 v8, v[6:7], off
	v_add_co_u32 v6, s0, v0, s2
	v_cmp_le_i64_e32 vcc_lo, s[8:9], v[1:2]
	v_add_co_ci_u32_e64 v7, s0, s3, v3, s0
	s_add_u32 s2, s2, s6
	s_addc_u32 s3, s3, 0
	s_or_b32 s1, vcc_lo, s1
	s_waitcnt vmcnt(0)
	global_store_b16 v[6:7], v8, off
	s_and_not1_b32 exec_lo, exec_lo, s1
	s_cbranch_execnz .LBB6_15
.LBB6_16:
	s_nop 0
	s_sendmsg sendmsg(MSG_DEALLOC_VGPRS)
	s_endpgm
	.section	.rodata,"a",@progbits
	.p2align	6, 0x0
	.amdhsa_kernel _ZL10tri_kernelI6__halfLb0ELi0EEvPKT_PS1_llllllllllll
		.amdhsa_group_segment_fixed_size 0
		.amdhsa_private_segment_fixed_size 0
		.amdhsa_kernarg_size 368
		.amdhsa_user_sgpr_count 13
		.amdhsa_user_sgpr_dispatch_ptr 0
		.amdhsa_user_sgpr_queue_ptr 0
		.amdhsa_user_sgpr_kernarg_segment_ptr 1
		.amdhsa_user_sgpr_dispatch_id 0
		.amdhsa_user_sgpr_private_segment_size 0
		.amdhsa_wavefront_size32 1
		.amdhsa_uses_dynamic_stack 0
		.amdhsa_enable_private_segment 0
		.amdhsa_system_sgpr_workgroup_id_x 1
		.amdhsa_system_sgpr_workgroup_id_y 1
		.amdhsa_system_sgpr_workgroup_id_z 1
		.amdhsa_system_sgpr_workgroup_info 0
		.amdhsa_system_vgpr_workitem_id 0
		.amdhsa_next_free_vgpr 16
		.amdhsa_next_free_sgpr 29
		.amdhsa_reserve_vcc 1
		.amdhsa_float_round_mode_32 0
		.amdhsa_float_round_mode_16_64 0
		.amdhsa_float_denorm_mode_32 3
		.amdhsa_float_denorm_mode_16_64 3
		.amdhsa_dx10_clamp 1
		.amdhsa_ieee_mode 1
		.amdhsa_fp16_overflow 0
		.amdhsa_workgroup_processor_mode 1
		.amdhsa_memory_ordered 1
		.amdhsa_forward_progress 0
		.amdhsa_shared_vgpr_count 0
		.amdhsa_exception_fp_ieee_invalid_op 0
		.amdhsa_exception_fp_denorm_src 0
		.amdhsa_exception_fp_ieee_div_zero 0
		.amdhsa_exception_fp_ieee_overflow 0
		.amdhsa_exception_fp_ieee_underflow 0
		.amdhsa_exception_fp_ieee_inexact 0
		.amdhsa_exception_int_div_zero 0
	.end_amdhsa_kernel
	.section	.text._ZL10tri_kernelI6__halfLb0ELi0EEvPKT_PS1_llllllllllll,"axG",@progbits,_ZL10tri_kernelI6__halfLb0ELi0EEvPKT_PS1_llllllllllll,comdat
.Lfunc_end6:
	.size	_ZL10tri_kernelI6__halfLb0ELi0EEvPKT_PS1_llllllllllll, .Lfunc_end6-_ZL10tri_kernelI6__halfLb0ELi0EEvPKT_PS1_llllllllllll
                                        ; -- End function
	.section	.AMDGPU.csdata,"",@progbits
; Kernel info:
; codeLenInByte = 1956
; NumSgprs: 31
; NumVgprs: 16
; ScratchSize: 0
; MemoryBound: 0
; FloatMode: 240
; IeeeMode: 1
; LDSByteSize: 0 bytes/workgroup (compile time only)
; SGPRBlocks: 3
; VGPRBlocks: 1
; NumSGPRsForWavesPerEU: 31
; NumVGPRsForWavesPerEU: 16
; Occupancy: 16
; WaveLimiterHint : 0
; COMPUTE_PGM_RSRC2:SCRATCH_EN: 0
; COMPUTE_PGM_RSRC2:USER_SGPR: 13
; COMPUTE_PGM_RSRC2:TRAP_HANDLER: 0
; COMPUTE_PGM_RSRC2:TGID_X_EN: 1
; COMPUTE_PGM_RSRC2:TGID_Y_EN: 1
; COMPUTE_PGM_RSRC2:TGID_Z_EN: 1
; COMPUTE_PGM_RSRC2:TIDIG_COMP_CNT: 0
	.section	.text._ZL10tri_kernelI6__halfLb0ELi1EEvPKT_PS1_llllllllllll,"axG",@progbits,_ZL10tri_kernelI6__halfLb0ELi1EEvPKT_PS1_llllllllllll,comdat
	.globl	_ZL10tri_kernelI6__halfLb0ELi1EEvPKT_PS1_llllllllllll ; -- Begin function _ZL10tri_kernelI6__halfLb0ELi1EEvPKT_PS1_llllllllllll
	.p2align	8
	.type	_ZL10tri_kernelI6__halfLb0ELi1EEvPKT_PS1_llllllllllll,@function
_ZL10tri_kernelI6__halfLb0ELi1EEvPKT_PS1_llllllllllll: ; @_ZL10tri_kernelI6__halfLb0ELi1EEvPKT_PS1_llllllllllll
; %bb.0:
	s_clause 0x1
	s_load_b128 s[16:19], s[0:1], 0x20
	s_load_b256 s[4:11], s[0:1], 0x0
	s_mov_b32 s25, 0
	s_mov_b32 s24, s15
	;; [unrolled: 1-line block ×5, first 2 shown]
	s_waitcnt lgkmcnt(0)
	v_cmp_ge_i64_e64 s2, s[24:25], s[18:19]
	v_cmp_ge_i64_e64 s3, s[14:15], s[16:17]
	;; [unrolled: 1-line block ×3, first 2 shown]
	s_delay_alu instid0(VALU_DEP_2)
	s_or_b32 s2, s3, s2
	s_delay_alu instid0(VALU_DEP_1) | instid1(SALU_CYCLE_1)
	s_or_b32 s2, s10, s2
	s_delay_alu instid0(SALU_CYCLE_1)
	s_and_b32 vcc_lo, exec_lo, s2
	s_cbranch_vccnz .LBB7_16
; %bb.1:
	s_clause 0x1
	s_load_b128 s[16:19], s[0:1], 0x58
	s_load_b64 s[2:3], s[0:1], 0x68
	v_mov_b32_e32 v1, 0
	s_add_u32 s26, s12, 1
	s_addc_u32 s27, 0, 0
	s_delay_alu instid0(VALU_DEP_1)
	v_dual_mov_b32 v3, v1 :: v_dual_mov_b32 v2, v0
	s_waitcnt lgkmcnt(0)
	s_mul_i32 s11, s14, s19
	s_mul_hi_u32 s15, s14, s18
	s_mul_i32 s10, s14, s18
	s_mul_i32 s3, s24, s3
	s_mul_hi_u32 s18, s24, s2
	s_add_i32 s11, s15, s11
	s_add_i32 s19, s18, s3
	s_mul_i32 s18, s24, s2
	s_mov_b32 s3, exec_lo
	v_cmpx_ge_u32_e64 s12, v0
	s_cbranch_execz .LBB7_13
; %bb.2:
	s_load_b32 s2, s[0:1], 0x7c
	s_waitcnt lgkmcnt(0)
	s_and_b32 s15, s2, 0xffff
	s_delay_alu instid0(SALU_CYCLE_1) | instskip(NEXT) | instid1(VALU_DEP_1)
	v_add_co_u32 v4, s2, v0, s15
	v_add_co_ci_u32_e64 v5, null, 0, 0, s2
	s_delay_alu instid0(VALU_DEP_1) | instskip(SKIP_1) | instid1(VALU_DEP_2)
	v_cmp_ge_u64_e64 s2, s[12:13], v[4:5]
	v_cmp_lt_u64_e32 vcc_lo, s[26:27], v[4:5]
	v_cndmask_b32_e64 v8, 0, 1, s2
	v_cndmask_b32_e32 v6, s27, v5, vcc_lo
	v_cndmask_b32_e32 v7, s26, v4, vcc_lo
	s_mov_b32 s2, exec_lo
	s_delay_alu instid0(VALU_DEP_3) | instskip(SKIP_1) | instid1(VALU_DEP_2)
	v_add_co_u32 v4, vcc_lo, v4, v8
	v_add_co_ci_u32_e32 v5, vcc_lo, 0, v5, vcc_lo
	v_sub_co_u32 v9, vcc_lo, v7, v4
	v_mov_b32_e32 v4, v1
	s_delay_alu instid0(VALU_DEP_3) | instskip(NEXT) | instid1(VALU_DEP_1)
	v_sub_co_ci_u32_e32 v5, vcc_lo, v6, v5, vcc_lo
                                        ; implicit-def: $vgpr6_vgpr7
	v_cmpx_ne_u64_e32 0, v[4:5]
	s_xor_b32 s20, exec_lo, s2
	s_cbranch_execz .LBB7_4
; %bb.3:
	v_cvt_f32_u32_e32 v4, s15
	s_sub_u32 s2, 0, s15
	s_subb_u32 s21, 0, 0
	s_delay_alu instid0(VALU_DEP_1) | instskip(NEXT) | instid1(VALU_DEP_1)
	v_fmamk_f32 v4, 0, 0x4f800000, v4
	v_rcp_f32_e32 v4, v4
	s_waitcnt_depctr 0xfff
	v_mul_f32_e32 v4, 0x5f7ffffc, v4
	s_delay_alu instid0(VALU_DEP_1) | instskip(NEXT) | instid1(VALU_DEP_1)
	v_mul_f32_e32 v6, 0x2f800000, v4
	v_trunc_f32_e32 v6, v6
	s_delay_alu instid0(VALU_DEP_1) | instskip(SKIP_1) | instid1(VALU_DEP_2)
	v_fmamk_f32 v4, v6, 0xcf800000, v4
	v_cvt_u32_f32_e32 v6, v6
	v_cvt_u32_f32_e32 v4, v4
	s_delay_alu instid0(VALU_DEP_2) | instskip(NEXT) | instid1(VALU_DEP_2)
	v_mul_lo_u32 v7, s2, v6
	v_mul_hi_u32 v10, s2, v4
	v_mul_lo_u32 v11, s21, v4
	s_delay_alu instid0(VALU_DEP_2) | instskip(SKIP_1) | instid1(VALU_DEP_2)
	v_add_nc_u32_e32 v7, v10, v7
	v_mul_lo_u32 v10, s2, v4
	v_add_nc_u32_e32 v7, v7, v11
	s_delay_alu instid0(VALU_DEP_2) | instskip(NEXT) | instid1(VALU_DEP_2)
	v_mul_hi_u32 v11, v4, v10
	v_mul_lo_u32 v12, v4, v7
	v_mul_hi_u32 v13, v4, v7
	v_mul_hi_u32 v14, v6, v10
	v_mul_lo_u32 v10, v6, v10
	v_mul_hi_u32 v15, v6, v7
	v_mul_lo_u32 v7, v6, v7
	v_add_co_u32 v11, vcc_lo, v11, v12
	v_add_co_ci_u32_e32 v12, vcc_lo, 0, v13, vcc_lo
	s_delay_alu instid0(VALU_DEP_2) | instskip(NEXT) | instid1(VALU_DEP_2)
	v_add_co_u32 v10, vcc_lo, v11, v10
	v_add_co_ci_u32_e32 v10, vcc_lo, v12, v14, vcc_lo
	v_add_co_ci_u32_e32 v11, vcc_lo, 0, v15, vcc_lo
	s_delay_alu instid0(VALU_DEP_2) | instskip(NEXT) | instid1(VALU_DEP_2)
	v_add_co_u32 v7, vcc_lo, v10, v7
	v_add_co_ci_u32_e32 v10, vcc_lo, 0, v11, vcc_lo
	s_delay_alu instid0(VALU_DEP_2) | instskip(NEXT) | instid1(VALU_DEP_2)
	v_add_co_u32 v4, vcc_lo, v4, v7
	v_add_co_ci_u32_e32 v6, vcc_lo, v6, v10, vcc_lo
	s_delay_alu instid0(VALU_DEP_2) | instskip(SKIP_1) | instid1(VALU_DEP_3)
	v_mul_hi_u32 v7, s2, v4
	v_mul_lo_u32 v11, s21, v4
	v_mul_lo_u32 v10, s2, v6
	s_delay_alu instid0(VALU_DEP_1) | instskip(SKIP_1) | instid1(VALU_DEP_2)
	v_add_nc_u32_e32 v7, v7, v10
	v_mul_lo_u32 v10, s2, v4
	v_add_nc_u32_e32 v7, v7, v11
	s_delay_alu instid0(VALU_DEP_2) | instskip(NEXT) | instid1(VALU_DEP_2)
	v_mul_hi_u32 v11, v4, v10
	v_mul_lo_u32 v12, v4, v7
	v_mul_hi_u32 v13, v4, v7
	v_mul_hi_u32 v14, v6, v10
	v_mul_lo_u32 v10, v6, v10
	v_mul_hi_u32 v15, v6, v7
	v_mul_lo_u32 v7, v6, v7
	v_add_co_u32 v11, vcc_lo, v11, v12
	v_add_co_ci_u32_e32 v12, vcc_lo, 0, v13, vcc_lo
	s_delay_alu instid0(VALU_DEP_2) | instskip(NEXT) | instid1(VALU_DEP_2)
	v_add_co_u32 v10, vcc_lo, v11, v10
	v_add_co_ci_u32_e32 v10, vcc_lo, v12, v14, vcc_lo
	v_add_co_ci_u32_e32 v11, vcc_lo, 0, v15, vcc_lo
	s_delay_alu instid0(VALU_DEP_2) | instskip(NEXT) | instid1(VALU_DEP_2)
	v_add_co_u32 v7, vcc_lo, v10, v7
	v_add_co_ci_u32_e32 v10, vcc_lo, 0, v11, vcc_lo
	s_delay_alu instid0(VALU_DEP_2) | instskip(NEXT) | instid1(VALU_DEP_2)
	v_add_co_u32 v4, vcc_lo, v4, v7
	v_add_co_ci_u32_e32 v14, vcc_lo, v6, v10, vcc_lo
	s_delay_alu instid0(VALU_DEP_2) | instskip(SKIP_1) | instid1(VALU_DEP_3)
	v_mul_hi_u32 v15, v9, v4
	v_mad_u64_u32 v[10:11], null, v5, v4, 0
	v_mad_u64_u32 v[6:7], null, v9, v14, 0
	;; [unrolled: 1-line block ×3, first 2 shown]
	s_delay_alu instid0(VALU_DEP_2) | instskip(NEXT) | instid1(VALU_DEP_3)
	v_add_co_u32 v4, vcc_lo, v15, v6
	v_add_co_ci_u32_e32 v6, vcc_lo, 0, v7, vcc_lo
	s_delay_alu instid0(VALU_DEP_2) | instskip(NEXT) | instid1(VALU_DEP_2)
	v_add_co_u32 v4, vcc_lo, v4, v10
	v_add_co_ci_u32_e32 v4, vcc_lo, v6, v11, vcc_lo
	v_add_co_ci_u32_e32 v6, vcc_lo, 0, v13, vcc_lo
	s_delay_alu instid0(VALU_DEP_2) | instskip(NEXT) | instid1(VALU_DEP_2)
	v_add_co_u32 v12, vcc_lo, v4, v12
	v_add_co_ci_u32_e32 v13, vcc_lo, 0, v6, vcc_lo
	s_delay_alu instid0(VALU_DEP_2) | instskip(NEXT) | instid1(VALU_DEP_1)
	v_mad_u64_u32 v[6:7], null, s15, v12, 0
	v_mov_b32_e32 v4, v7
	s_delay_alu instid0(VALU_DEP_1) | instskip(NEXT) | instid1(VALU_DEP_3)
	v_mad_u64_u32 v[10:11], null, s15, v13, v[4:5]
	v_sub_co_u32 v4, vcc_lo, v9, v6
	s_delay_alu instid0(VALU_DEP_2) | instskip(NEXT) | instid1(VALU_DEP_2)
	v_sub_co_ci_u32_e32 v5, vcc_lo, v5, v10, vcc_lo
	v_sub_co_u32 v6, vcc_lo, v4, s15
	s_delay_alu instid0(VALU_DEP_2) | instskip(NEXT) | instid1(VALU_DEP_2)
	v_subrev_co_ci_u32_e32 v7, vcc_lo, 0, v5, vcc_lo
	v_cmp_le_u32_e32 vcc_lo, s15, v6
	v_cmp_eq_u32_e64 s2, 0, v5
	v_cndmask_b32_e64 v6, 0, -1, vcc_lo
	v_add_co_u32 v9, vcc_lo, v12, 2
	v_add_co_ci_u32_e32 v10, vcc_lo, 0, v13, vcc_lo
	v_cmp_le_u32_e32 vcc_lo, s15, v4
	v_cndmask_b32_e64 v4, 0, -1, vcc_lo
	v_cmp_eq_u32_e32 vcc_lo, 0, v7
	s_delay_alu instid0(VALU_DEP_2) | instskip(SKIP_3) | instid1(VALU_DEP_3)
	v_cndmask_b32_e64 v4, -1, v4, s2
	v_cndmask_b32_e32 v6, -1, v6, vcc_lo
	v_add_co_u32 v7, vcc_lo, v12, 1
	v_add_co_ci_u32_e32 v11, vcc_lo, 0, v13, vcc_lo
	v_cmp_ne_u32_e32 vcc_lo, 0, v6
	s_delay_alu instid0(VALU_DEP_2) | instskip(NEXT) | instid1(VALU_DEP_4)
	v_cndmask_b32_e32 v5, v11, v10, vcc_lo
	v_cndmask_b32_e32 v6, v7, v9, vcc_lo
	v_cmp_ne_u32_e32 vcc_lo, 0, v4
                                        ; implicit-def: $vgpr9
	s_delay_alu instid0(VALU_DEP_2)
	v_dual_cndmask_b32 v7, v13, v5 :: v_dual_cndmask_b32 v6, v12, v6
.LBB7_4:
	s_and_not1_saveexec_b32 s2, s20
	s_cbranch_execz .LBB7_6
; %bb.5:
	v_cvt_f32_u32_e32 v4, s15
	s_sub_i32 s20, 0, s15
	s_delay_alu instid0(VALU_DEP_1) | instskip(SKIP_2) | instid1(VALU_DEP_1)
	v_rcp_iflag_f32_e32 v4, v4
	s_waitcnt_depctr 0xfff
	v_mul_f32_e32 v4, 0x4f7ffffe, v4
	v_cvt_u32_f32_e32 v4, v4
	s_delay_alu instid0(VALU_DEP_1) | instskip(NEXT) | instid1(VALU_DEP_1)
	v_mul_lo_u32 v5, s20, v4
	v_mul_hi_u32 v5, v4, v5
	s_delay_alu instid0(VALU_DEP_1) | instskip(NEXT) | instid1(VALU_DEP_1)
	v_add_nc_u32_e32 v4, v4, v5
	v_mul_hi_u32 v4, v9, v4
	s_delay_alu instid0(VALU_DEP_1) | instskip(SKIP_1) | instid1(VALU_DEP_2)
	v_mul_lo_u32 v5, v4, s15
	v_add_nc_u32_e32 v6, 1, v4
	v_sub_nc_u32_e32 v5, v9, v5
	s_delay_alu instid0(VALU_DEP_1) | instskip(SKIP_1) | instid1(VALU_DEP_2)
	v_subrev_nc_u32_e32 v7, s15, v5
	v_cmp_le_u32_e32 vcc_lo, s15, v5
	v_cndmask_b32_e32 v5, v5, v7, vcc_lo
	v_dual_mov_b32 v7, 0 :: v_dual_cndmask_b32 v4, v4, v6
	s_delay_alu instid0(VALU_DEP_2) | instskip(NEXT) | instid1(VALU_DEP_2)
	v_cmp_le_u32_e32 vcc_lo, s15, v5
	v_add_nc_u32_e32 v6, 1, v4
	s_delay_alu instid0(VALU_DEP_1)
	v_cndmask_b32_e32 v6, v4, v6, vcc_lo
.LBB7_6:
	s_or_b32 exec_lo, exec_lo, s2
	s_delay_alu instid0(VALU_DEP_1) | instskip(SKIP_2) | instid1(VALU_DEP_3)
	v_add_co_u32 v4, vcc_lo, v6, v8
	v_add_co_ci_u32_e32 v5, vcc_lo, 0, v7, vcc_lo
	v_cmp_eq_u16_e64 s2, s15, 1
	v_add_co_u32 v6, vcc_lo, v4, 1
	s_delay_alu instid0(VALU_DEP_3) | instskip(SKIP_3) | instid1(VALU_DEP_1)
	v_add_co_ci_u32_e32 v7, vcc_lo, 0, v5, vcc_lo
	s_mul_i32 s20, s12, s17
	s_mul_hi_u32 s21, s12, s16
	s_mul_i32 s28, s12, s16
	v_cmp_lt_u64_e32 vcc_lo, 15, v[6:7]
	s_add_i32 s29, s21, s20
	s_and_b32 s20, vcc_lo, s2
	s_mov_b32 s2, -1
	s_and_saveexec_b32 s25, s20
	s_cbranch_execz .LBB7_10
; %bb.7:
	s_lshl_b64 s[20:21], s[28:29], 1
	v_dual_mov_b32 v9, v7 :: v_dual_and_b32 v8, -16, v6
	s_add_u32 s2, s6, s20
	s_addc_u32 s22, s7, s21
	s_lshl_b64 s[20:21], s[10:11], 1
	s_delay_alu instid0(SALU_CYCLE_1)
	s_add_u32 s2, s2, s20
	s_addc_u32 s22, s22, s21
	s_lshl_b64 s[20:21], s[18:19], 1
	v_mov_b32_e32 v13, v9
	s_add_u32 s2, s2, s20
	s_mov_b32 s20, 0
	s_addc_u32 s30, s22, s21
	s_mov_b32 s21, s20
	s_mov_b32 s22, s20
	;; [unrolled: 1-line block ×3, first 2 shown]
	v_lshlrev_b32_e32 v2, 1, v0
	v_mov_b32_e32 v12, v8
	s_delay_alu instid0(VALU_DEP_2)
	v_add_co_u32 v10, s2, s2, v2
	v_dual_mov_b32 v2, s20 :: v_dual_mov_b32 v5, s23
	v_mov_b32_e32 v4, s22
	v_add_co_ci_u32_e64 v11, null, s30, 0, s2
	v_mov_b32_e32 v3, s21
	s_lshl_b32 s21, s15, 5
.LBB7_8:                                ; =>This Inner Loop Header: Depth=1
	v_add_co_u32 v12, vcc_lo, v12, -16
	v_add_co_ci_u32_e32 v13, vcc_lo, -1, v13, vcc_lo
	s_clause 0x1
	global_store_b128 v[10:11], v[2:5], off
	global_store_b128 v[10:11], v[2:5], off offset:16
	v_add_co_u32 v10, s2, v10, s21
	v_cmp_eq_u64_e32 vcc_lo, 0, v[12:13]
	v_add_co_ci_u32_e64 v11, s2, 0, v11, s2
	s_or_b32 s20, vcc_lo, s20
	s_delay_alu instid0(SALU_CYCLE_1)
	s_and_not1_b32 exec_lo, exec_lo, s20
	s_cbranch_execnz .LBB7_8
; %bb.9:
	s_or_b32 exec_lo, exec_lo, s20
	v_mad_u64_u32 v[2:3], null, v8, s15, v[0:1]
	v_cmp_ne_u64_e32 vcc_lo, v[6:7], v[8:9]
	s_or_not1_b32 s2, vcc_lo, exec_lo
	s_delay_alu instid0(VALU_DEP_2) | instskip(NEXT) | instid1(VALU_DEP_1)
	v_mov_b32_e32 v1, v3
	v_mad_u64_u32 v[3:4], null, v9, s15, v[1:2]
                                        ; kill: def $vgpr1 killed $sgpr0 killed $exec
.LBB7_10:
	s_or_b32 exec_lo, exec_lo, s25
	s_delay_alu instid0(SALU_CYCLE_1)
	s_and_b32 exec_lo, exec_lo, s2
	s_cbranch_execz .LBB7_13
; %bb.11:
	s_lshl_b64 s[20:21], s[18:19], 1
	s_lshl_b64 s[22:23], s[10:11], 1
	s_delay_alu instid0(VALU_DEP_1)
	v_lshlrev_b64 v[4:5], 1, v[2:3]
	s_add_u32 s2, s20, s22
	s_addc_u32 s22, s21, s23
	s_lshl_b64 s[20:21], s[28:29], 1
	v_mov_b32_e32 v1, 0
	s_add_u32 s2, s2, s20
	s_addc_u32 s20, s22, s21
	s_add_u32 s2, s6, s2
	s_addc_u32 s20, s7, s20
	v_add_co_u32 v4, vcc_lo, s2, v4
	v_add_co_ci_u32_e32 v5, vcc_lo, s20, v5, vcc_lo
	s_lshl_b32 s20, s15, 1
	s_mov_b32 s21, 0
.LBB7_12:                               ; =>This Inner Loop Header: Depth=1
	v_add_co_u32 v2, vcc_lo, v2, s15
	v_add_co_ci_u32_e32 v3, vcc_lo, 0, v3, vcc_lo
	global_store_b16 v[4:5], v1, off
	v_add_co_u32 v4, s2, v4, s20
	v_cmp_lt_u64_e32 vcc_lo, s[12:13], v[2:3]
	v_add_co_ci_u32_e64 v5, s2, 0, v5, s2
	s_or_b32 s21, vcc_lo, s21
	s_delay_alu instid0(SALU_CYCLE_1)
	s_and_not1_b32 exec_lo, exec_lo, s21
	s_cbranch_execnz .LBB7_12
.LBB7_13:
	s_or_b32 exec_lo, exec_lo, s3
	v_add_co_u32 v1, s2, s26, v0
	s_delay_alu instid0(VALU_DEP_1) | instskip(SKIP_1) | instid1(VALU_DEP_1)
	v_add_co_ci_u32_e64 v2, null, s27, 0, s2
	s_mov_b32 s2, exec_lo
	v_cmpx_gt_i64_e64 s[8:9], v[1:2]
	s_cbranch_execz .LBB7_16
; %bb.14:
	s_clause 0x2
	s_load_b128 s[20:23], s[0:1], 0x38
	s_load_b64 s[2:3], s[0:1], 0x48
	s_load_b32 s0, s[0:1], 0x7c
	s_waitcnt lgkmcnt(0)
	s_mul_i32 s13, s14, s23
	s_mul_hi_u32 s15, s14, s22
	s_mul_i32 s14, s14, s22
	s_mul_i32 s3, s24, s3
	s_mul_hi_u32 s22, s24, s2
	s_and_b32 s1, s0, 0xffff
	s_add_i32 s15, s15, s13
	s_add_i32 s22, s22, s3
	s_add_u32 s0, s18, s10
	s_addc_u32 s3, s19, s11
	s_add_u32 s10, s16, 1
	s_addc_u32 s11, s17, 0
	s_mul_hi_u32 s13, s10, s12
	s_mul_i32 s11, s11, s12
	s_mul_i32 s10, s10, s12
	s_add_i32 s13, s13, s11
	s_add_u32 s0, s0, s10
	s_mul_i32 s2, s24, s2
	s_addc_u32 s3, s3, s13
	s_lshl_b32 s10, s1, 1
	v_add_co_u32 v3, s0, s0, v0
	s_add_u32 s2, s2, s14
	v_add_co_ci_u32_e64 v4, null, s3, 0, s0
	s_addc_u32 s0, s22, s15
	s_add_u32 s3, s20, 1
	s_addc_u32 s11, s21, 0
	s_mul_hi_u32 s13, s3, s12
	s_mul_i32 s11, s11, s12
	s_mul_i32 s3, s3, s12
	s_add_i32 s13, s13, s11
	s_add_u32 s2, s2, s3
	s_addc_u32 s0, s0, s13
	v_add_co_u32 v5, s2, s2, v0
	s_delay_alu instid0(VALU_DEP_1) | instskip(SKIP_2) | instid1(VALU_DEP_2)
	v_add_co_ci_u32_e64 v6, null, s0, 0, s2
	v_lshlrev_b64 v[3:4], 1, v[3:4]
	s_mov_b64 s[2:3], 2
	v_lshlrev_b64 v[5:6], 1, v[5:6]
	s_delay_alu instid0(VALU_DEP_2) | instskip(NEXT) | instid1(VALU_DEP_3)
	v_add_co_u32 v0, vcc_lo, s6, v3
	v_add_co_ci_u32_e32 v3, vcc_lo, s7, v4, vcc_lo
	s_delay_alu instid0(VALU_DEP_3) | instskip(NEXT) | instid1(VALU_DEP_4)
	v_add_co_u32 v4, vcc_lo, s4, v5
	v_add_co_ci_u32_e32 v5, vcc_lo, s5, v6, vcc_lo
	s_mov_b32 s4, 0
	.p2align	6
.LBB7_15:                               ; =>This Inner Loop Header: Depth=1
	s_delay_alu instid0(VALU_DEP_2) | instskip(NEXT) | instid1(VALU_DEP_2)
	v_add_co_u32 v6, vcc_lo, v4, s2
	v_add_co_ci_u32_e32 v7, vcc_lo, s3, v5, vcc_lo
	v_add_co_u32 v1, vcc_lo, v1, s1
	v_add_co_ci_u32_e32 v2, vcc_lo, 0, v2, vcc_lo
	global_load_u16 v8, v[6:7], off
	v_add_co_u32 v6, s0, v0, s2
	v_cmp_le_i64_e32 vcc_lo, s[8:9], v[1:2]
	v_add_co_ci_u32_e64 v7, s0, s3, v3, s0
	s_add_u32 s2, s2, s10
	s_addc_u32 s3, s3, 0
	s_or_b32 s4, vcc_lo, s4
	s_waitcnt vmcnt(0)
	global_store_b16 v[6:7], v8, off
	s_and_not1_b32 exec_lo, exec_lo, s4
	s_cbranch_execnz .LBB7_15
.LBB7_16:
	s_nop 0
	s_sendmsg sendmsg(MSG_DEALLOC_VGPRS)
	s_endpgm
	.section	.rodata,"a",@progbits
	.p2align	6, 0x0
	.amdhsa_kernel _ZL10tri_kernelI6__halfLb0ELi1EEvPKT_PS1_llllllllllll
		.amdhsa_group_segment_fixed_size 0
		.amdhsa_private_segment_fixed_size 0
		.amdhsa_kernarg_size 368
		.amdhsa_user_sgpr_count 13
		.amdhsa_user_sgpr_dispatch_ptr 0
		.amdhsa_user_sgpr_queue_ptr 0
		.amdhsa_user_sgpr_kernarg_segment_ptr 1
		.amdhsa_user_sgpr_dispatch_id 0
		.amdhsa_user_sgpr_private_segment_size 0
		.amdhsa_wavefront_size32 1
		.amdhsa_uses_dynamic_stack 0
		.amdhsa_enable_private_segment 0
		.amdhsa_system_sgpr_workgroup_id_x 1
		.amdhsa_system_sgpr_workgroup_id_y 1
		.amdhsa_system_sgpr_workgroup_id_z 1
		.amdhsa_system_sgpr_workgroup_info 0
		.amdhsa_system_vgpr_workitem_id 0
		.amdhsa_next_free_vgpr 16
		.amdhsa_next_free_sgpr 31
		.amdhsa_reserve_vcc 1
		.amdhsa_float_round_mode_32 0
		.amdhsa_float_round_mode_16_64 0
		.amdhsa_float_denorm_mode_32 3
		.amdhsa_float_denorm_mode_16_64 3
		.amdhsa_dx10_clamp 1
		.amdhsa_ieee_mode 1
		.amdhsa_fp16_overflow 0
		.amdhsa_workgroup_processor_mode 1
		.amdhsa_memory_ordered 1
		.amdhsa_forward_progress 0
		.amdhsa_shared_vgpr_count 0
		.amdhsa_exception_fp_ieee_invalid_op 0
		.amdhsa_exception_fp_denorm_src 0
		.amdhsa_exception_fp_ieee_div_zero 0
		.amdhsa_exception_fp_ieee_overflow 0
		.amdhsa_exception_fp_ieee_underflow 0
		.amdhsa_exception_fp_ieee_inexact 0
		.amdhsa_exception_int_div_zero 0
	.end_amdhsa_kernel
	.section	.text._ZL10tri_kernelI6__halfLb0ELi1EEvPKT_PS1_llllllllllll,"axG",@progbits,_ZL10tri_kernelI6__halfLb0ELi1EEvPKT_PS1_llllllllllll,comdat
.Lfunc_end7:
	.size	_ZL10tri_kernelI6__halfLb0ELi1EEvPKT_PS1_llllllllllll, .Lfunc_end7-_ZL10tri_kernelI6__halfLb0ELi1EEvPKT_PS1_llllllllllll
                                        ; -- End function
	.section	.AMDGPU.csdata,"",@progbits
; Kernel info:
; codeLenInByte = 1964
; NumSgprs: 33
; NumVgprs: 16
; ScratchSize: 0
; MemoryBound: 0
; FloatMode: 240
; IeeeMode: 1
; LDSByteSize: 0 bytes/workgroup (compile time only)
; SGPRBlocks: 4
; VGPRBlocks: 1
; NumSGPRsForWavesPerEU: 33
; NumVGPRsForWavesPerEU: 16
; Occupancy: 16
; WaveLimiterHint : 0
; COMPUTE_PGM_RSRC2:SCRATCH_EN: 0
; COMPUTE_PGM_RSRC2:USER_SGPR: 13
; COMPUTE_PGM_RSRC2:TRAP_HANDLER: 0
; COMPUTE_PGM_RSRC2:TGID_X_EN: 1
; COMPUTE_PGM_RSRC2:TGID_Y_EN: 1
; COMPUTE_PGM_RSRC2:TGID_Z_EN: 1
; COMPUTE_PGM_RSRC2:TIDIG_COMP_CNT: 0
	.section	.text._ZL10tri_kernelI14__hip_bfloat16Lb1ELi0EEvPKT_PS1_llllllllllll,"axG",@progbits,_ZL10tri_kernelI14__hip_bfloat16Lb1ELi0EEvPKT_PS1_llllllllllll,comdat
	.globl	_ZL10tri_kernelI14__hip_bfloat16Lb1ELi0EEvPKT_PS1_llllllllllll ; -- Begin function _ZL10tri_kernelI14__hip_bfloat16Lb1ELi0EEvPKT_PS1_llllllllllll
	.p2align	8
	.type	_ZL10tri_kernelI14__hip_bfloat16Lb1ELi0EEvPKT_PS1_llllllllllll,@function
_ZL10tri_kernelI14__hip_bfloat16Lb1ELi0EEvPKT_PS1_llllllllllll: ; @_ZL10tri_kernelI14__hip_bfloat16Lb1ELi0EEvPKT_PS1_llllllllllll
; %bb.0:
	s_clause 0x1
	s_load_b128 s[20:23], s[0:1], 0x20
	s_load_b256 s[4:11], s[0:1], 0x0
	s_mov_b32 s3, 0
	s_mov_b32 s2, s15
	;; [unrolled: 1-line block ×5, first 2 shown]
	s_waitcnt lgkmcnt(0)
	v_cmp_ge_i64_e64 s3, s[2:3], s[22:23]
	v_cmp_ge_i64_e64 s12, s[14:15], s[20:21]
	v_cmp_ge_i64_e64 s10, s[18:19], s[10:11]
	s_delay_alu instid0(VALU_DEP_2)
	s_or_b32 s3, s12, s3
	s_delay_alu instid0(VALU_DEP_1) | instid1(SALU_CYCLE_1)
	s_or_b32 s3, s10, s3
	s_delay_alu instid0(SALU_CYCLE_1)
	s_and_b32 vcc_lo, exec_lo, s3
	s_cbranch_vccnz .LBB8_16
; %bb.1:
	s_clause 0x1
	s_load_b128 s[20:23], s[0:1], 0x58
	s_load_b64 s[16:17], s[0:1], 0x68
	v_mov_b32_e32 v1, 0
	s_waitcnt lgkmcnt(0)
	s_mul_i32 s3, s18, s21
	s_mul_hi_u32 s11, s18, s20
	s_mul_i32 s10, s18, s20
	s_mul_i32 s13, s14, s23
	s_mul_hi_u32 s15, s14, s22
	s_mul_i32 s17, s2, s17
	s_mul_hi_u32 s20, s2, s16
	s_mul_i32 s12, s14, s22
	s_add_i32 s11, s11, s3
	s_add_i32 s13, s15, s13
	;; [unrolled: 1-line block ×3, first 2 shown]
	s_mul_i32 s16, s2, s16
	s_mov_b32 s3, exec_lo
	v_cmpx_gt_u32_e64 s18, v0
	s_cbranch_execz .LBB8_4
; %bb.2:
	s_clause 0x2
	s_load_b32 s15, s[0:1], 0x7c
	s_load_b64 s[24:25], s[0:1], 0x48
	s_load_b128 s[20:23], s[0:1], 0x38
	s_lshl_b64 s[26:27], s[16:17], 1
	s_lshl_b64 s[28:29], s[12:13], 1
	v_lshlrev_b32_e32 v2, 1, v0
	s_waitcnt lgkmcnt(0)
	s_and_b32 s15, s15, 0xffff
	s_mul_i32 s25, s25, s2
	s_mul_hi_u32 s30, s24, s2
	s_mul_i32 s24, s24, s2
	s_mul_i32 s2, s23, s14
	s_mul_hi_u32 s23, s22, s14
	s_mul_i32 s22, s22, s14
	s_add_u32 s14, s26, s28
	s_addc_u32 s28, s27, s29
	s_lshl_b64 s[26:27], s[10:11], 1
	s_mul_i32 s21, s21, s18
	s_add_u32 s14, s14, s26
	s_addc_u32 s26, s28, s27
	s_add_u32 s27, s6, s14
	s_addc_u32 s26, s7, s26
	s_add_i32 s25, s30, s25
	s_add_i32 s23, s23, s2
	s_lshl_b64 s[24:25], s[24:25], 1
	s_lshl_b64 s[22:23], s[22:23], 1
	s_mul_hi_u32 s31, s20, s18
	s_lshl_b32 s14, s15, 1
	s_add_u32 s2, s24, s22
	s_mul_i32 s20, s20, s18
	s_addc_u32 s22, s25, s23
	s_add_i32 s21, s31, s21
	v_add_co_u32 v3, s23, s27, v2
	s_lshl_b64 s[20:21], s[20:21], 1
	v_add_co_ci_u32_e64 v4, null, s26, 0, s23
	s_add_u32 s2, s2, s20
	s_addc_u32 s20, s22, s21
	s_add_u32 s2, s4, s2
	s_addc_u32 s4, s5, s20
	v_add_co_u32 v5, s2, s2, v2
	v_mov_b32_e32 v2, v1
	v_mov_b32_e32 v1, v0
	v_add_co_ci_u32_e64 v6, null, s4, 0, s2
	s_mov_b32 s20, 0
	s_mov_b64 s[4:5], 0
	.p2align	6
.LBB8_3:                                ; =>This Inner Loop Header: Depth=1
	s_delay_alu instid0(SALU_CYCLE_1) | instskip(NEXT) | instid1(VALU_DEP_2)
	v_add_co_u32 v7, vcc_lo, v5, s4
	v_add_co_ci_u32_e32 v8, vcc_lo, s5, v6, vcc_lo
	v_add_co_u32 v1, vcc_lo, v1, s15
	v_add_co_ci_u32_e32 v2, vcc_lo, 0, v2, vcc_lo
	global_load_u16 v9, v[7:8], off
	v_add_co_u32 v7, s2, v3, s4
	v_cmp_le_u64_e32 vcc_lo, s[18:19], v[1:2]
	v_add_co_ci_u32_e64 v8, s2, s5, v4, s2
	s_add_u32 s4, s4, s14
	s_addc_u32 s5, s5, 0
	s_or_b32 s20, vcc_lo, s20
	s_waitcnt vmcnt(0)
	global_store_b16 v[7:8], v9, off
	s_and_not1_b32 exec_lo, exec_lo, s20
	s_cbranch_execnz .LBB8_3
.LBB8_4:
	s_or_b32 exec_lo, exec_lo, s3
	v_add_co_u32 v0, s2, v0, s18
	s_delay_alu instid0(VALU_DEP_1) | instskip(SKIP_1) | instid1(VALU_DEP_1)
	v_add_co_ci_u32_e64 v1, null, 0, 0, s2
	s_mov_b32 s2, exec_lo
	v_cmpx_gt_i64_e64 s[8:9], v[0:1]
	s_cbranch_execz .LBB8_16
; %bb.5:
	s_load_b32 s0, s[0:1], 0x7c
	s_waitcnt lgkmcnt(0)
	s_and_b32 s1, s0, 0xffff
	s_mov_b32 s0, exec_lo
	v_add_co_u32 v2, vcc_lo, v0, s1
	v_add_co_ci_u32_e32 v3, vcc_lo, 0, v1, vcc_lo
	s_delay_alu instid0(VALU_DEP_1) | instskip(SKIP_3) | instid1(VALU_DEP_3)
	v_cmp_gt_i64_e32 vcc_lo, s[8:9], v[2:3]
	v_cndmask_b32_e64 v6, 0, 1, vcc_lo
	v_cndmask_b32_e64 v4, v3, s9, vcc_lo
	;; [unrolled: 1-line block ×3, first 2 shown]
	v_add_co_u32 v2, vcc_lo, v2, v6
	v_add_co_ci_u32_e32 v3, vcc_lo, 0, v3, vcc_lo
	s_delay_alu instid0(VALU_DEP_2) | instskip(NEXT) | instid1(VALU_DEP_2)
	v_sub_co_u32 v7, vcc_lo, v5, v2
	v_sub_co_ci_u32_e32 v3, vcc_lo, v4, v3, vcc_lo
	v_mov_b32_e32 v2, 0
                                        ; implicit-def: $vgpr4_vgpr5
	s_delay_alu instid0(VALU_DEP_1)
	v_cmpx_ne_u64_e32 0, v[2:3]
	s_xor_b32 s2, exec_lo, s0
	s_cbranch_execz .LBB8_7
; %bb.6:
	v_cvt_f32_u32_e32 v2, s1
	s_sub_u32 s0, 0, s1
	s_subb_u32 s3, 0, 0
	s_delay_alu instid0(VALU_DEP_1) | instskip(NEXT) | instid1(VALU_DEP_1)
	v_fmamk_f32 v2, 0, 0x4f800000, v2
	v_rcp_f32_e32 v2, v2
	s_waitcnt_depctr 0xfff
	v_mul_f32_e32 v2, 0x5f7ffffc, v2
	s_delay_alu instid0(VALU_DEP_1) | instskip(NEXT) | instid1(VALU_DEP_1)
	v_mul_f32_e32 v4, 0x2f800000, v2
	v_trunc_f32_e32 v4, v4
	s_delay_alu instid0(VALU_DEP_1) | instskip(SKIP_1) | instid1(VALU_DEP_2)
	v_fmamk_f32 v2, v4, 0xcf800000, v2
	v_cvt_u32_f32_e32 v4, v4
	v_cvt_u32_f32_e32 v2, v2
	s_delay_alu instid0(VALU_DEP_2) | instskip(NEXT) | instid1(VALU_DEP_2)
	v_mul_lo_u32 v5, s0, v4
	v_mul_hi_u32 v8, s0, v2
	v_mul_lo_u32 v9, s3, v2
	s_delay_alu instid0(VALU_DEP_2) | instskip(SKIP_1) | instid1(VALU_DEP_2)
	v_add_nc_u32_e32 v5, v8, v5
	v_mul_lo_u32 v8, s0, v2
	v_add_nc_u32_e32 v5, v5, v9
	s_delay_alu instid0(VALU_DEP_2) | instskip(NEXT) | instid1(VALU_DEP_2)
	v_mul_hi_u32 v9, v2, v8
	v_mul_lo_u32 v10, v2, v5
	v_mul_hi_u32 v11, v2, v5
	v_mul_hi_u32 v12, v4, v8
	v_mul_lo_u32 v8, v4, v8
	v_mul_hi_u32 v13, v4, v5
	v_mul_lo_u32 v5, v4, v5
	v_add_co_u32 v9, vcc_lo, v9, v10
	v_add_co_ci_u32_e32 v10, vcc_lo, 0, v11, vcc_lo
	s_delay_alu instid0(VALU_DEP_2) | instskip(NEXT) | instid1(VALU_DEP_2)
	v_add_co_u32 v8, vcc_lo, v9, v8
	v_add_co_ci_u32_e32 v8, vcc_lo, v10, v12, vcc_lo
	v_add_co_ci_u32_e32 v9, vcc_lo, 0, v13, vcc_lo
	s_delay_alu instid0(VALU_DEP_2) | instskip(NEXT) | instid1(VALU_DEP_2)
	v_add_co_u32 v5, vcc_lo, v8, v5
	v_add_co_ci_u32_e32 v8, vcc_lo, 0, v9, vcc_lo
	s_delay_alu instid0(VALU_DEP_2) | instskip(NEXT) | instid1(VALU_DEP_2)
	v_add_co_u32 v2, vcc_lo, v2, v5
	v_add_co_ci_u32_e32 v4, vcc_lo, v4, v8, vcc_lo
	s_delay_alu instid0(VALU_DEP_2) | instskip(SKIP_1) | instid1(VALU_DEP_3)
	v_mul_hi_u32 v5, s0, v2
	v_mul_lo_u32 v9, s3, v2
	v_mul_lo_u32 v8, s0, v4
	s_delay_alu instid0(VALU_DEP_1) | instskip(SKIP_1) | instid1(VALU_DEP_2)
	v_add_nc_u32_e32 v5, v5, v8
	v_mul_lo_u32 v8, s0, v2
	v_add_nc_u32_e32 v5, v5, v9
	s_delay_alu instid0(VALU_DEP_2) | instskip(NEXT) | instid1(VALU_DEP_2)
	v_mul_hi_u32 v9, v2, v8
	v_mul_lo_u32 v10, v2, v5
	v_mul_hi_u32 v11, v2, v5
	v_mul_hi_u32 v12, v4, v8
	v_mul_lo_u32 v8, v4, v8
	v_mul_hi_u32 v13, v4, v5
	v_mul_lo_u32 v5, v4, v5
	v_add_co_u32 v9, vcc_lo, v9, v10
	v_add_co_ci_u32_e32 v10, vcc_lo, 0, v11, vcc_lo
	s_delay_alu instid0(VALU_DEP_2) | instskip(NEXT) | instid1(VALU_DEP_2)
	v_add_co_u32 v8, vcc_lo, v9, v8
	v_add_co_ci_u32_e32 v8, vcc_lo, v10, v12, vcc_lo
	v_add_co_ci_u32_e32 v9, vcc_lo, 0, v13, vcc_lo
	s_delay_alu instid0(VALU_DEP_2) | instskip(NEXT) | instid1(VALU_DEP_2)
	v_add_co_u32 v5, vcc_lo, v8, v5
	v_add_co_ci_u32_e32 v8, vcc_lo, 0, v9, vcc_lo
	s_delay_alu instid0(VALU_DEP_2) | instskip(NEXT) | instid1(VALU_DEP_2)
	v_add_co_u32 v2, vcc_lo, v2, v5
	v_add_co_ci_u32_e32 v12, vcc_lo, v4, v8, vcc_lo
	s_delay_alu instid0(VALU_DEP_2) | instskip(SKIP_1) | instid1(VALU_DEP_3)
	v_mul_hi_u32 v13, v7, v2
	v_mad_u64_u32 v[8:9], null, v3, v2, 0
	v_mad_u64_u32 v[4:5], null, v7, v12, 0
	;; [unrolled: 1-line block ×3, first 2 shown]
	s_delay_alu instid0(VALU_DEP_2) | instskip(NEXT) | instid1(VALU_DEP_3)
	v_add_co_u32 v2, vcc_lo, v13, v4
	v_add_co_ci_u32_e32 v4, vcc_lo, 0, v5, vcc_lo
	s_delay_alu instid0(VALU_DEP_2) | instskip(NEXT) | instid1(VALU_DEP_2)
	v_add_co_u32 v2, vcc_lo, v2, v8
	v_add_co_ci_u32_e32 v2, vcc_lo, v4, v9, vcc_lo
	v_add_co_ci_u32_e32 v4, vcc_lo, 0, v11, vcc_lo
	s_delay_alu instid0(VALU_DEP_2) | instskip(NEXT) | instid1(VALU_DEP_2)
	v_add_co_u32 v10, vcc_lo, v2, v10
	v_add_co_ci_u32_e32 v11, vcc_lo, 0, v4, vcc_lo
	s_delay_alu instid0(VALU_DEP_2) | instskip(NEXT) | instid1(VALU_DEP_1)
	v_mad_u64_u32 v[4:5], null, s1, v10, 0
	v_mov_b32_e32 v2, v5
	s_delay_alu instid0(VALU_DEP_1) | instskip(NEXT) | instid1(VALU_DEP_3)
	v_mad_u64_u32 v[8:9], null, s1, v11, v[2:3]
	v_sub_co_u32 v2, vcc_lo, v7, v4
	s_delay_alu instid0(VALU_DEP_2) | instskip(NEXT) | instid1(VALU_DEP_2)
	v_sub_co_ci_u32_e32 v3, vcc_lo, v3, v8, vcc_lo
	v_sub_co_u32 v4, vcc_lo, v2, s1
	s_delay_alu instid0(VALU_DEP_2) | instskip(NEXT) | instid1(VALU_DEP_2)
	v_subrev_co_ci_u32_e32 v5, vcc_lo, 0, v3, vcc_lo
	v_cmp_le_u32_e32 vcc_lo, s1, v4
	v_cmp_eq_u32_e64 s0, 0, v3
	v_cndmask_b32_e64 v4, 0, -1, vcc_lo
	v_add_co_u32 v7, vcc_lo, v10, 2
	v_add_co_ci_u32_e32 v8, vcc_lo, 0, v11, vcc_lo
	v_cmp_le_u32_e32 vcc_lo, s1, v2
	v_cndmask_b32_e64 v2, 0, -1, vcc_lo
	v_cmp_eq_u32_e32 vcc_lo, 0, v5
	s_delay_alu instid0(VALU_DEP_2) | instskip(SKIP_3) | instid1(VALU_DEP_3)
	v_cndmask_b32_e64 v2, -1, v2, s0
	v_cndmask_b32_e32 v4, -1, v4, vcc_lo
	v_add_co_u32 v5, vcc_lo, v10, 1
	v_add_co_ci_u32_e32 v9, vcc_lo, 0, v11, vcc_lo
	v_cmp_ne_u32_e32 vcc_lo, 0, v4
	s_delay_alu instid0(VALU_DEP_2) | instskip(NEXT) | instid1(VALU_DEP_4)
	v_cndmask_b32_e32 v3, v9, v8, vcc_lo
	v_cndmask_b32_e32 v4, v5, v7, vcc_lo
	v_cmp_ne_u32_e32 vcc_lo, 0, v2
                                        ; implicit-def: $vgpr7
	s_delay_alu instid0(VALU_DEP_2)
	v_dual_cndmask_b32 v5, v11, v3 :: v_dual_cndmask_b32 v4, v10, v4
.LBB8_7:
	s_and_not1_saveexec_b32 s0, s2
	s_cbranch_execz .LBB8_9
; %bb.8:
	v_cvt_f32_u32_e32 v2, s1
	s_sub_i32 s2, 0, s1
	s_delay_alu instid0(VALU_DEP_1) | instskip(SKIP_2) | instid1(VALU_DEP_1)
	v_rcp_iflag_f32_e32 v2, v2
	s_waitcnt_depctr 0xfff
	v_mul_f32_e32 v2, 0x4f7ffffe, v2
	v_cvt_u32_f32_e32 v2, v2
	s_delay_alu instid0(VALU_DEP_1) | instskip(NEXT) | instid1(VALU_DEP_1)
	v_mul_lo_u32 v3, s2, v2
	v_mul_hi_u32 v3, v2, v3
	s_delay_alu instid0(VALU_DEP_1) | instskip(NEXT) | instid1(VALU_DEP_1)
	v_add_nc_u32_e32 v2, v2, v3
	v_mul_hi_u32 v2, v7, v2
	s_delay_alu instid0(VALU_DEP_1) | instskip(SKIP_1) | instid1(VALU_DEP_2)
	v_mul_lo_u32 v3, v2, s1
	v_add_nc_u32_e32 v4, 1, v2
	v_sub_nc_u32_e32 v3, v7, v3
	s_delay_alu instid0(VALU_DEP_1) | instskip(SKIP_1) | instid1(VALU_DEP_2)
	v_subrev_nc_u32_e32 v5, s1, v3
	v_cmp_le_u32_e32 vcc_lo, s1, v3
	v_cndmask_b32_e32 v3, v3, v5, vcc_lo
	v_dual_mov_b32 v5, 0 :: v_dual_cndmask_b32 v2, v2, v4
	s_delay_alu instid0(VALU_DEP_2) | instskip(NEXT) | instid1(VALU_DEP_2)
	v_cmp_le_u32_e32 vcc_lo, s1, v3
	v_add_nc_u32_e32 v4, 1, v2
	s_delay_alu instid0(VALU_DEP_1)
	v_cndmask_b32_e32 v4, v2, v4, vcc_lo
.LBB8_9:
	s_or_b32 exec_lo, exec_lo, s0
	s_delay_alu instid0(VALU_DEP_1) | instskip(SKIP_2) | instid1(VALU_DEP_3)
	v_add_co_u32 v2, vcc_lo, v4, v6
	v_add_co_ci_u32_e32 v3, vcc_lo, 0, v5, vcc_lo
	v_cmp_eq_u16_e64 s0, s1, 1
	v_add_co_u32 v2, vcc_lo, v2, 1
	s_delay_alu instid0(VALU_DEP_3) | instskip(NEXT) | instid1(VALU_DEP_1)
	v_add_co_ci_u32_e32 v3, vcc_lo, 0, v3, vcc_lo
	v_cmp_lt_u64_e32 vcc_lo, 1, v[2:3]
	s_delay_alu instid0(VALU_DEP_4)
	s_and_b32 s3, vcc_lo, s0
	s_mov_b32 s0, -1
	s_and_saveexec_b32 s2, s3
	s_cbranch_execz .LBB8_13
; %bb.10:
	s_lshl_b64 s[4:5], s[10:11], 1
	v_lshlrev_b64 v[6:7], 1, v[0:1]
	s_add_u32 s0, s6, s4
	s_addc_u32 s3, s7, s5
	s_lshl_b64 s[4:5], s[12:13], 1
	v_dual_mov_b32 v5, v3 :: v_dual_and_b32 v4, -2, v2
	s_add_u32 s0, s0, s4
	s_addc_u32 s3, s3, s5
	s_lshl_b64 s[4:5], s[16:17], 1
	s_delay_alu instid0(VALU_DEP_1)
	v_dual_mov_b32 v10, 0 :: v_dual_mov_b32 v9, v5
	s_add_u32 s0, s0, s4
	s_addc_u32 s3, s3, s5
	v_add_co_u32 v6, vcc_lo, s0, v6
	v_add_co_ci_u32_e32 v7, vcc_lo, s3, v7, vcc_lo
	v_mov_b32_e32 v8, v4
	s_lshl_b32 s4, s1, 2
	s_mov_b32 s3, 0
.LBB8_11:                               ; =>This Inner Loop Header: Depth=1
	s_delay_alu instid0(VALU_DEP_1)
	v_add_co_u32 v8, vcc_lo, v8, -2
	v_add_co_ci_u32_e32 v9, vcc_lo, -1, v9, vcc_lo
	global_store_b32 v[6:7], v10, off
	v_add_co_u32 v6, s0, v6, s4
	v_cmp_eq_u64_e32 vcc_lo, 0, v[8:9]
	v_add_co_ci_u32_e64 v7, s0, 0, v7, s0
	s_or_b32 s3, vcc_lo, s3
	s_delay_alu instid0(SALU_CYCLE_1)
	s_and_not1_b32 exec_lo, exec_lo, s3
	s_cbranch_execnz .LBB8_11
; %bb.12:
	s_or_b32 exec_lo, exec_lo, s3
	v_mad_u64_u32 v[6:7], null, v4, s1, v[0:1]
	v_cmp_ne_u64_e32 vcc_lo, v[2:3], v[4:5]
	s_or_not1_b32 s0, vcc_lo, exec_lo
	s_delay_alu instid0(VALU_DEP_2) | instskip(NEXT) | instid1(VALU_DEP_1)
	v_mov_b32_e32 v0, v7
	v_mad_u64_u32 v[7:8], null, v5, s1, v[0:1]
	s_delay_alu instid0(VALU_DEP_1)
	v_dual_mov_b32 v0, v6 :: v_dual_mov_b32 v1, v7
.LBB8_13:
	s_or_b32 exec_lo, exec_lo, s2
	s_delay_alu instid0(SALU_CYCLE_1)
	s_and_b32 exec_lo, exec_lo, s0
	s_cbranch_execz .LBB8_16
; %bb.14:
	s_lshl_b64 s[2:3], s[16:17], 1
	s_lshl_b64 s[4:5], s[12:13], 1
	v_lshlrev_b64 v[2:3], 1, v[0:1]
	s_add_u32 s0, s2, s4
	s_addc_u32 s4, s3, s5
	s_lshl_b64 s[2:3], s[10:11], 1
	v_mov_b32_e32 v4, 0
	s_add_u32 s0, s0, s2
	s_addc_u32 s2, s4, s3
	s_add_u32 s0, s6, s0
	s_addc_u32 s2, s7, s2
	v_add_co_u32 v2, vcc_lo, s0, v2
	v_add_co_ci_u32_e32 v3, vcc_lo, s2, v3, vcc_lo
	s_lshl_b32 s2, s1, 1
	s_mov_b32 s3, 0
.LBB8_15:                               ; =>This Inner Loop Header: Depth=1
	v_add_co_u32 v0, vcc_lo, v0, s1
	v_add_co_ci_u32_e32 v1, vcc_lo, 0, v1, vcc_lo
	global_store_b16 v[2:3], v4, off
	v_add_co_u32 v2, s0, v2, s2
	v_cmp_le_i64_e32 vcc_lo, s[8:9], v[0:1]
	v_add_co_ci_u32_e64 v3, s0, 0, v3, s0
	s_or_b32 s3, vcc_lo, s3
	s_delay_alu instid0(SALU_CYCLE_1)
	s_and_not1_b32 exec_lo, exec_lo, s3
	s_cbranch_execnz .LBB8_15
.LBB8_16:
	s_nop 0
	s_sendmsg sendmsg(MSG_DEALLOC_VGPRS)
	s_endpgm
	.section	.rodata,"a",@progbits
	.p2align	6, 0x0
	.amdhsa_kernel _ZL10tri_kernelI14__hip_bfloat16Lb1ELi0EEvPKT_PS1_llllllllllll
		.amdhsa_group_segment_fixed_size 0
		.amdhsa_private_segment_fixed_size 0
		.amdhsa_kernarg_size 368
		.amdhsa_user_sgpr_count 13
		.amdhsa_user_sgpr_dispatch_ptr 0
		.amdhsa_user_sgpr_queue_ptr 0
		.amdhsa_user_sgpr_kernarg_segment_ptr 1
		.amdhsa_user_sgpr_dispatch_id 0
		.amdhsa_user_sgpr_private_segment_size 0
		.amdhsa_wavefront_size32 1
		.amdhsa_uses_dynamic_stack 0
		.amdhsa_enable_private_segment 0
		.amdhsa_system_sgpr_workgroup_id_x 1
		.amdhsa_system_sgpr_workgroup_id_y 1
		.amdhsa_system_sgpr_workgroup_id_z 1
		.amdhsa_system_sgpr_workgroup_info 0
		.amdhsa_system_vgpr_workitem_id 0
		.amdhsa_next_free_vgpr 14
		.amdhsa_next_free_sgpr 32
		.amdhsa_reserve_vcc 1
		.amdhsa_float_round_mode_32 0
		.amdhsa_float_round_mode_16_64 0
		.amdhsa_float_denorm_mode_32 3
		.amdhsa_float_denorm_mode_16_64 3
		.amdhsa_dx10_clamp 1
		.amdhsa_ieee_mode 1
		.amdhsa_fp16_overflow 0
		.amdhsa_workgroup_processor_mode 1
		.amdhsa_memory_ordered 1
		.amdhsa_forward_progress 0
		.amdhsa_shared_vgpr_count 0
		.amdhsa_exception_fp_ieee_invalid_op 0
		.amdhsa_exception_fp_denorm_src 0
		.amdhsa_exception_fp_ieee_div_zero 0
		.amdhsa_exception_fp_ieee_overflow 0
		.amdhsa_exception_fp_ieee_underflow 0
		.amdhsa_exception_fp_ieee_inexact 0
		.amdhsa_exception_int_div_zero 0
	.end_amdhsa_kernel
	.section	.text._ZL10tri_kernelI14__hip_bfloat16Lb1ELi0EEvPKT_PS1_llllllllllll,"axG",@progbits,_ZL10tri_kernelI14__hip_bfloat16Lb1ELi0EEvPKT_PS1_llllllllllll,comdat
.Lfunc_end8:
	.size	_ZL10tri_kernelI14__hip_bfloat16Lb1ELi0EEvPKT_PS1_llllllllllll, .Lfunc_end8-_ZL10tri_kernelI14__hip_bfloat16Lb1ELi0EEvPKT_PS1_llllllllllll
                                        ; -- End function
	.section	.AMDGPU.csdata,"",@progbits
; Kernel info:
; codeLenInByte = 1880
; NumSgprs: 34
; NumVgprs: 14
; ScratchSize: 0
; MemoryBound: 0
; FloatMode: 240
; IeeeMode: 1
; LDSByteSize: 0 bytes/workgroup (compile time only)
; SGPRBlocks: 4
; VGPRBlocks: 1
; NumSGPRsForWavesPerEU: 34
; NumVGPRsForWavesPerEU: 14
; Occupancy: 16
; WaveLimiterHint : 0
; COMPUTE_PGM_RSRC2:SCRATCH_EN: 0
; COMPUTE_PGM_RSRC2:USER_SGPR: 13
; COMPUTE_PGM_RSRC2:TRAP_HANDLER: 0
; COMPUTE_PGM_RSRC2:TGID_X_EN: 1
; COMPUTE_PGM_RSRC2:TGID_Y_EN: 1
; COMPUTE_PGM_RSRC2:TGID_Z_EN: 1
; COMPUTE_PGM_RSRC2:TIDIG_COMP_CNT: 0
	.section	.text._ZL10tri_kernelI14__hip_bfloat16Lb1ELi1EEvPKT_PS1_llllllllllll,"axG",@progbits,_ZL10tri_kernelI14__hip_bfloat16Lb1ELi1EEvPKT_PS1_llllllllllll,comdat
	.globl	_ZL10tri_kernelI14__hip_bfloat16Lb1ELi1EEvPKT_PS1_llllllllllll ; -- Begin function _ZL10tri_kernelI14__hip_bfloat16Lb1ELi1EEvPKT_PS1_llllllllllll
	.p2align	8
	.type	_ZL10tri_kernelI14__hip_bfloat16Lb1ELi1EEvPKT_PS1_llllllllllll,@function
_ZL10tri_kernelI14__hip_bfloat16Lb1ELi1EEvPKT_PS1_llllllllllll: ; @_ZL10tri_kernelI14__hip_bfloat16Lb1ELi1EEvPKT_PS1_llllllllllll
; %bb.0:
	s_clause 0x1
	s_load_b128 s[20:23], s[0:1], 0x20
	s_load_b256 s[4:11], s[0:1], 0x0
	s_mov_b32 s3, 0
	s_mov_b32 s2, s15
	;; [unrolled: 1-line block ×5, first 2 shown]
	s_waitcnt lgkmcnt(0)
	v_cmp_ge_i64_e64 s3, s[2:3], s[22:23]
	v_cmp_ge_i64_e64 s12, s[14:15], s[20:21]
	;; [unrolled: 1-line block ×3, first 2 shown]
	s_delay_alu instid0(VALU_DEP_2)
	s_or_b32 s3, s12, s3
	s_delay_alu instid0(VALU_DEP_1) | instid1(SALU_CYCLE_1)
	s_or_b32 s3, s10, s3
	s_delay_alu instid0(SALU_CYCLE_1)
	s_and_b32 vcc_lo, exec_lo, s3
	s_cbranch_vccnz .LBB9_16
; %bb.1:
	s_clause 0x1
	s_load_b128 s[20:23], s[0:1], 0x58
	s_load_b64 s[16:17], s[0:1], 0x68
	v_mov_b32_e32 v1, 0
	s_waitcnt lgkmcnt(0)
	s_mul_i32 s3, s18, s21
	s_mul_hi_u32 s11, s18, s20
	s_mul_i32 s10, s18, s20
	s_mul_i32 s13, s14, s23
	s_mul_hi_u32 s15, s14, s22
	s_mul_i32 s17, s2, s17
	s_mul_hi_u32 s20, s2, s16
	s_mul_i32 s12, s14, s22
	s_add_i32 s11, s11, s3
	s_add_i32 s13, s15, s13
	s_add_i32 s17, s20, s17
	s_mul_i32 s16, s2, s16
	s_mov_b32 s3, exec_lo
	v_cmpx_ge_u32_e64 s18, v0
	s_cbranch_execz .LBB9_4
; %bb.2:
	s_clause 0x2
	s_load_b32 s15, s[0:1], 0x7c
	s_load_b64 s[24:25], s[0:1], 0x48
	s_load_b128 s[20:23], s[0:1], 0x38
	s_lshl_b64 s[26:27], s[16:17], 1
	s_lshl_b64 s[28:29], s[12:13], 1
	v_lshlrev_b32_e32 v2, 1, v0
	s_waitcnt lgkmcnt(0)
	s_and_b32 s15, s15, 0xffff
	s_mul_i32 s25, s25, s2
	s_mul_hi_u32 s30, s24, s2
	s_mul_i32 s24, s24, s2
	s_mul_i32 s2, s23, s14
	s_mul_hi_u32 s23, s22, s14
	s_mul_i32 s22, s22, s14
	s_add_u32 s14, s26, s28
	s_addc_u32 s28, s27, s29
	s_lshl_b64 s[26:27], s[10:11], 1
	s_mul_i32 s21, s21, s18
	s_add_u32 s14, s14, s26
	s_addc_u32 s26, s28, s27
	s_add_u32 s27, s6, s14
	s_addc_u32 s26, s7, s26
	s_add_i32 s25, s30, s25
	s_add_i32 s23, s23, s2
	s_lshl_b64 s[24:25], s[24:25], 1
	s_lshl_b64 s[22:23], s[22:23], 1
	s_mul_hi_u32 s31, s20, s18
	s_lshl_b32 s14, s15, 1
	s_add_u32 s2, s24, s22
	s_mul_i32 s20, s20, s18
	s_addc_u32 s22, s25, s23
	s_add_i32 s21, s31, s21
	v_add_co_u32 v3, s23, s27, v2
	s_lshl_b64 s[20:21], s[20:21], 1
	v_add_co_ci_u32_e64 v4, null, s26, 0, s23
	s_add_u32 s2, s2, s20
	s_addc_u32 s20, s22, s21
	s_add_u32 s2, s4, s2
	s_addc_u32 s4, s5, s20
	v_add_co_u32 v5, s2, s2, v2
	v_mov_b32_e32 v2, v1
	v_mov_b32_e32 v1, v0
	v_add_co_ci_u32_e64 v6, null, s4, 0, s2
	s_mov_b32 s20, 0
	s_mov_b64 s[4:5], 0
	.p2align	6
.LBB9_3:                                ; =>This Inner Loop Header: Depth=1
	s_delay_alu instid0(SALU_CYCLE_1) | instskip(NEXT) | instid1(VALU_DEP_2)
	v_add_co_u32 v7, vcc_lo, v5, s4
	v_add_co_ci_u32_e32 v8, vcc_lo, s5, v6, vcc_lo
	v_add_co_u32 v1, vcc_lo, v1, s15
	v_add_co_ci_u32_e32 v2, vcc_lo, 0, v2, vcc_lo
	global_load_u16 v9, v[7:8], off
	v_add_co_u32 v7, s2, v3, s4
	v_cmp_lt_u64_e32 vcc_lo, s[18:19], v[1:2]
	v_add_co_ci_u32_e64 v8, s2, s5, v4, s2
	s_add_u32 s4, s4, s14
	s_addc_u32 s5, s5, 0
	s_or_b32 s20, vcc_lo, s20
	s_waitcnt vmcnt(0)
	global_store_b16 v[7:8], v9, off
	s_and_not1_b32 exec_lo, exec_lo, s20
	s_cbranch_execnz .LBB9_3
.LBB9_4:
	s_or_b32 exec_lo, exec_lo, s3
	s_add_u32 s2, s18, 1
	s_addc_u32 s3, 0, 0
	v_add_co_u32 v1, s2, s2, v0
	s_delay_alu instid0(VALU_DEP_1) | instskip(SKIP_1) | instid1(VALU_DEP_1)
	v_add_co_ci_u32_e64 v2, null, s3, 0, s2
	s_mov_b32 s2, exec_lo
	v_cmpx_gt_i64_e64 s[8:9], v[1:2]
	s_cbranch_execz .LBB9_16
; %bb.5:
	s_load_b32 s0, s[0:1], 0x7c
	v_add_co_u32 v3, s1, s18, v0
	s_delay_alu instid0(VALU_DEP_1)
	v_add_co_ci_u32_e64 v4, null, 0, 0, s1
	s_waitcnt lgkmcnt(0)
	s_and_b32 s1, s0, 0xffff
	s_mov_b32 s0, exec_lo
	v_add_co_u32 v5, vcc_lo, v3, s1
	v_add_co_ci_u32_e32 v6, vcc_lo, 0, v4, vcc_lo
	s_delay_alu instid0(VALU_DEP_2) | instskip(NEXT) | instid1(VALU_DEP_2)
	v_add_co_u32 v7, vcc_lo, v5, 1
	v_add_co_ci_u32_e32 v8, vcc_lo, 0, v6, vcc_lo
	s_delay_alu instid0(VALU_DEP_1) | instskip(SKIP_2) | instid1(VALU_DEP_2)
	v_cmp_gt_i64_e32 vcc_lo, s[8:9], v[7:8]
	v_cndmask_b32_e64 v7, v7, s8, vcc_lo
	v_cndmask_b32_e64 v0, v8, s9, vcc_lo
	v_add_co_u32 v7, vcc_lo, v7, -1
	s_delay_alu instid0(VALU_DEP_2) | instskip(NEXT) | instid1(VALU_DEP_1)
	v_add_co_ci_u32_e32 v8, vcc_lo, -1, v0, vcc_lo
	v_cmp_ne_u64_e32 vcc_lo, v[7:8], v[5:6]
	v_cndmask_b32_e64 v0, 0, 1, vcc_lo
	s_delay_alu instid0(VALU_DEP_1) | instskip(SKIP_1) | instid1(VALU_DEP_2)
	v_add_co_u32 v5, vcc_lo, v5, v0
	v_add_co_ci_u32_e32 v6, vcc_lo, 0, v6, vcc_lo
	v_sub_co_u32 v9, vcc_lo, v7, v5
	s_delay_alu instid0(VALU_DEP_2) | instskip(SKIP_1) | instid1(VALU_DEP_1)
	v_sub_co_ci_u32_e32 v6, vcc_lo, v8, v6, vcc_lo
	v_mov_b32_e32 v5, 0
                                        ; implicit-def: $vgpr7_vgpr8
	v_cmpx_ne_u64_e32 0, v[5:6]
	s_xor_b32 s2, exec_lo, s0
	s_cbranch_execz .LBB9_7
; %bb.6:
	v_cvt_f32_u32_e32 v5, s1
	s_sub_u32 s0, 0, s1
	s_subb_u32 s3, 0, 0
	s_delay_alu instid0(VALU_DEP_1) | instskip(NEXT) | instid1(VALU_DEP_1)
	v_fmamk_f32 v5, 0, 0x4f800000, v5
	v_rcp_f32_e32 v5, v5
	s_waitcnt_depctr 0xfff
	v_mul_f32_e32 v5, 0x5f7ffffc, v5
	s_delay_alu instid0(VALU_DEP_1) | instskip(NEXT) | instid1(VALU_DEP_1)
	v_mul_f32_e32 v7, 0x2f800000, v5
	v_trunc_f32_e32 v7, v7
	s_delay_alu instid0(VALU_DEP_1) | instskip(SKIP_1) | instid1(VALU_DEP_2)
	v_fmamk_f32 v5, v7, 0xcf800000, v5
	v_cvt_u32_f32_e32 v7, v7
	v_cvt_u32_f32_e32 v5, v5
	s_delay_alu instid0(VALU_DEP_2) | instskip(NEXT) | instid1(VALU_DEP_2)
	v_mul_lo_u32 v8, s0, v7
	v_mul_hi_u32 v10, s0, v5
	v_mul_lo_u32 v11, s3, v5
	s_delay_alu instid0(VALU_DEP_2) | instskip(SKIP_1) | instid1(VALU_DEP_2)
	v_add_nc_u32_e32 v8, v10, v8
	v_mul_lo_u32 v10, s0, v5
	v_add_nc_u32_e32 v8, v8, v11
	s_delay_alu instid0(VALU_DEP_2) | instskip(NEXT) | instid1(VALU_DEP_2)
	v_mul_hi_u32 v11, v5, v10
	v_mul_lo_u32 v12, v5, v8
	v_mul_hi_u32 v13, v5, v8
	v_mul_hi_u32 v14, v7, v10
	v_mul_lo_u32 v10, v7, v10
	v_mul_hi_u32 v15, v7, v8
	v_mul_lo_u32 v8, v7, v8
	v_add_co_u32 v11, vcc_lo, v11, v12
	v_add_co_ci_u32_e32 v12, vcc_lo, 0, v13, vcc_lo
	s_delay_alu instid0(VALU_DEP_2) | instskip(NEXT) | instid1(VALU_DEP_2)
	v_add_co_u32 v10, vcc_lo, v11, v10
	v_add_co_ci_u32_e32 v10, vcc_lo, v12, v14, vcc_lo
	v_add_co_ci_u32_e32 v11, vcc_lo, 0, v15, vcc_lo
	s_delay_alu instid0(VALU_DEP_2) | instskip(NEXT) | instid1(VALU_DEP_2)
	v_add_co_u32 v8, vcc_lo, v10, v8
	v_add_co_ci_u32_e32 v10, vcc_lo, 0, v11, vcc_lo
	s_delay_alu instid0(VALU_DEP_2) | instskip(NEXT) | instid1(VALU_DEP_2)
	v_add_co_u32 v5, vcc_lo, v5, v8
	v_add_co_ci_u32_e32 v7, vcc_lo, v7, v10, vcc_lo
	s_delay_alu instid0(VALU_DEP_2) | instskip(SKIP_1) | instid1(VALU_DEP_3)
	v_mul_hi_u32 v8, s0, v5
	v_mul_lo_u32 v11, s3, v5
	v_mul_lo_u32 v10, s0, v7
	s_delay_alu instid0(VALU_DEP_1) | instskip(SKIP_1) | instid1(VALU_DEP_2)
	v_add_nc_u32_e32 v8, v8, v10
	v_mul_lo_u32 v10, s0, v5
	v_add_nc_u32_e32 v8, v8, v11
	s_delay_alu instid0(VALU_DEP_2) | instskip(NEXT) | instid1(VALU_DEP_2)
	v_mul_hi_u32 v11, v5, v10
	v_mul_lo_u32 v12, v5, v8
	v_mul_hi_u32 v13, v5, v8
	v_mul_hi_u32 v14, v7, v10
	v_mul_lo_u32 v10, v7, v10
	v_mul_hi_u32 v15, v7, v8
	v_mul_lo_u32 v8, v7, v8
	v_add_co_u32 v11, vcc_lo, v11, v12
	v_add_co_ci_u32_e32 v12, vcc_lo, 0, v13, vcc_lo
	s_delay_alu instid0(VALU_DEP_2) | instskip(NEXT) | instid1(VALU_DEP_2)
	v_add_co_u32 v10, vcc_lo, v11, v10
	v_add_co_ci_u32_e32 v10, vcc_lo, v12, v14, vcc_lo
	v_add_co_ci_u32_e32 v11, vcc_lo, 0, v15, vcc_lo
	s_delay_alu instid0(VALU_DEP_2) | instskip(NEXT) | instid1(VALU_DEP_2)
	v_add_co_u32 v8, vcc_lo, v10, v8
	v_add_co_ci_u32_e32 v10, vcc_lo, 0, v11, vcc_lo
	s_delay_alu instid0(VALU_DEP_2) | instskip(NEXT) | instid1(VALU_DEP_2)
	v_add_co_u32 v5, vcc_lo, v5, v8
	v_add_co_ci_u32_e32 v14, vcc_lo, v7, v10, vcc_lo
	s_delay_alu instid0(VALU_DEP_2) | instskip(SKIP_1) | instid1(VALU_DEP_3)
	v_mul_hi_u32 v15, v9, v5
	v_mad_u64_u32 v[10:11], null, v6, v5, 0
	v_mad_u64_u32 v[7:8], null, v9, v14, 0
	;; [unrolled: 1-line block ×3, first 2 shown]
	s_delay_alu instid0(VALU_DEP_2) | instskip(NEXT) | instid1(VALU_DEP_3)
	v_add_co_u32 v5, vcc_lo, v15, v7
	v_add_co_ci_u32_e32 v7, vcc_lo, 0, v8, vcc_lo
	s_delay_alu instid0(VALU_DEP_2) | instskip(NEXT) | instid1(VALU_DEP_2)
	v_add_co_u32 v5, vcc_lo, v5, v10
	v_add_co_ci_u32_e32 v5, vcc_lo, v7, v11, vcc_lo
	v_add_co_ci_u32_e32 v7, vcc_lo, 0, v13, vcc_lo
	s_delay_alu instid0(VALU_DEP_2) | instskip(NEXT) | instid1(VALU_DEP_2)
	v_add_co_u32 v12, vcc_lo, v5, v12
	v_add_co_ci_u32_e32 v13, vcc_lo, 0, v7, vcc_lo
	s_delay_alu instid0(VALU_DEP_2) | instskip(NEXT) | instid1(VALU_DEP_1)
	v_mad_u64_u32 v[7:8], null, s1, v12, 0
	v_mov_b32_e32 v5, v8
	s_delay_alu instid0(VALU_DEP_1) | instskip(NEXT) | instid1(VALU_DEP_3)
	v_mad_u64_u32 v[10:11], null, s1, v13, v[5:6]
	v_sub_co_u32 v5, vcc_lo, v9, v7
	s_delay_alu instid0(VALU_DEP_2) | instskip(NEXT) | instid1(VALU_DEP_2)
	v_sub_co_ci_u32_e32 v6, vcc_lo, v6, v10, vcc_lo
	v_sub_co_u32 v7, vcc_lo, v5, s1
	s_delay_alu instid0(VALU_DEP_2) | instskip(NEXT) | instid1(VALU_DEP_2)
	v_subrev_co_ci_u32_e32 v8, vcc_lo, 0, v6, vcc_lo
	v_cmp_le_u32_e32 vcc_lo, s1, v7
	v_cmp_eq_u32_e64 s0, 0, v6
	v_cndmask_b32_e64 v7, 0, -1, vcc_lo
	v_add_co_u32 v9, vcc_lo, v12, 2
	v_add_co_ci_u32_e32 v10, vcc_lo, 0, v13, vcc_lo
	v_cmp_le_u32_e32 vcc_lo, s1, v5
	v_cndmask_b32_e64 v5, 0, -1, vcc_lo
	v_cmp_eq_u32_e32 vcc_lo, 0, v8
	s_delay_alu instid0(VALU_DEP_2) | instskip(SKIP_3) | instid1(VALU_DEP_3)
	v_cndmask_b32_e64 v5, -1, v5, s0
	v_cndmask_b32_e32 v7, -1, v7, vcc_lo
	v_add_co_u32 v8, vcc_lo, v12, 1
	v_add_co_ci_u32_e32 v11, vcc_lo, 0, v13, vcc_lo
	v_cmp_ne_u32_e32 vcc_lo, 0, v7
	s_delay_alu instid0(VALU_DEP_2) | instskip(SKIP_1) | instid1(VALU_DEP_2)
	v_dual_cndmask_b32 v6, v11, v10 :: v_dual_cndmask_b32 v7, v8, v9
	v_cmp_ne_u32_e32 vcc_lo, 0, v5
                                        ; implicit-def: $vgpr9
	v_dual_cndmask_b32 v8, v13, v6 :: v_dual_cndmask_b32 v7, v12, v7
.LBB9_7:
	s_and_not1_saveexec_b32 s0, s2
	s_cbranch_execz .LBB9_9
; %bb.8:
	v_cvt_f32_u32_e32 v5, s1
	s_sub_i32 s2, 0, s1
	s_delay_alu instid0(VALU_DEP_1) | instskip(SKIP_2) | instid1(VALU_DEP_1)
	v_rcp_iflag_f32_e32 v5, v5
	s_waitcnt_depctr 0xfff
	v_mul_f32_e32 v5, 0x4f7ffffe, v5
	v_cvt_u32_f32_e32 v5, v5
	s_delay_alu instid0(VALU_DEP_1) | instskip(NEXT) | instid1(VALU_DEP_1)
	v_mul_lo_u32 v6, s2, v5
	v_mul_hi_u32 v6, v5, v6
	s_delay_alu instid0(VALU_DEP_1) | instskip(NEXT) | instid1(VALU_DEP_1)
	v_add_nc_u32_e32 v5, v5, v6
	v_mul_hi_u32 v5, v9, v5
	s_delay_alu instid0(VALU_DEP_1) | instskip(SKIP_1) | instid1(VALU_DEP_2)
	v_mul_lo_u32 v6, v5, s1
	v_add_nc_u32_e32 v7, 1, v5
	v_sub_nc_u32_e32 v6, v9, v6
	s_delay_alu instid0(VALU_DEP_1) | instskip(SKIP_1) | instid1(VALU_DEP_2)
	v_subrev_nc_u32_e32 v8, s1, v6
	v_cmp_le_u32_e32 vcc_lo, s1, v6
	v_cndmask_b32_e32 v6, v6, v8, vcc_lo
	v_dual_mov_b32 v8, 0 :: v_dual_cndmask_b32 v5, v5, v7
	s_delay_alu instid0(VALU_DEP_2) | instskip(NEXT) | instid1(VALU_DEP_2)
	v_cmp_le_u32_e32 vcc_lo, s1, v6
	v_add_nc_u32_e32 v7, 1, v5
	s_delay_alu instid0(VALU_DEP_1)
	v_cndmask_b32_e32 v7, v5, v7, vcc_lo
.LBB9_9:
	s_or_b32 exec_lo, exec_lo, s0
	s_delay_alu instid0(VALU_DEP_1) | instskip(SKIP_2) | instid1(VALU_DEP_3)
	v_add_co_u32 v0, vcc_lo, v7, v0
	v_add_co_ci_u32_e32 v6, vcc_lo, 0, v8, vcc_lo
	v_cmp_eq_u16_e64 s0, s1, 1
	v_add_co_u32 v5, vcc_lo, v0, 1
	s_delay_alu instid0(VALU_DEP_3) | instskip(NEXT) | instid1(VALU_DEP_1)
	v_add_co_ci_u32_e32 v6, vcc_lo, 0, v6, vcc_lo
	v_cmp_lt_u64_e32 vcc_lo, 1, v[5:6]
	s_delay_alu instid0(VALU_DEP_4)
	s_and_b32 s3, vcc_lo, s0
	s_mov_b32 s0, -1
	s_and_saveexec_b32 s2, s3
	s_cbranch_execz .LBB9_13
; %bb.10:
	s_lshl_b64 s[4:5], s[10:11], 1
	v_lshlrev_b64 v[7:8], 1, v[3:4]
	s_add_u32 s0, s6, s4
	s_addc_u32 s3, s7, s5
	s_lshl_b64 s[4:5], s[12:13], 1
	v_dual_mov_b32 v4, v6 :: v_dual_and_b32 v3, -2, v5
	s_add_u32 s0, s0, s4
	s_addc_u32 s3, s3, s5
	s_lshl_b64 s[4:5], s[16:17], 1
	s_delay_alu instid0(SALU_CYCLE_1) | instskip(SKIP_4) | instid1(VALU_DEP_3)
	s_add_u32 s0, s0, s4
	s_addc_u32 s3, s3, s5
	v_add_co_u32 v0, vcc_lo, s0, v7
	v_add_co_ci_u32_e32 v8, vcc_lo, s3, v8, vcc_lo
	v_mov_b32_e32 v10, v4
	v_add_co_u32 v7, vcc_lo, v0, 2
	s_delay_alu instid0(VALU_DEP_3)
	v_add_co_ci_u32_e32 v8, vcc_lo, 0, v8, vcc_lo
	v_dual_mov_b32 v0, 0 :: v_dual_mov_b32 v9, v3
	s_lshl_b32 s4, s1, 2
	s_mov_b32 s3, 0
.LBB9_11:                               ; =>This Inner Loop Header: Depth=1
	s_delay_alu instid0(VALU_DEP_1)
	v_add_co_u32 v9, vcc_lo, v9, -2
	v_add_co_ci_u32_e32 v10, vcc_lo, -1, v10, vcc_lo
	global_store_b32 v[7:8], v0, off
	v_add_co_u32 v7, s0, v7, s4
	v_cmp_eq_u64_e32 vcc_lo, 0, v[9:10]
	v_add_co_ci_u32_e64 v8, s0, 0, v8, s0
	s_or_b32 s3, vcc_lo, s3
	s_delay_alu instid0(SALU_CYCLE_1)
	s_and_not1_b32 exec_lo, exec_lo, s3
	s_cbranch_execnz .LBB9_11
; %bb.12:
	s_or_b32 exec_lo, exec_lo, s3
	v_mad_u64_u32 v[7:8], null, v3, s1, v[1:2]
	v_cmp_ne_u64_e32 vcc_lo, v[5:6], v[3:4]
	s_or_not1_b32 s0, vcc_lo, exec_lo
	s_delay_alu instid0(VALU_DEP_2) | instskip(NEXT) | instid1(VALU_DEP_1)
	v_mov_b32_e32 v0, v8
	v_mad_u64_u32 v[1:2], null, v4, s1, v[0:1]
	s_delay_alu instid0(VALU_DEP_1) | instskip(NEXT) | instid1(VALU_DEP_1)
	v_mov_b32_e32 v8, v1
	v_dual_mov_b32 v1, v7 :: v_dual_mov_b32 v2, v8
.LBB9_13:
	s_or_b32 exec_lo, exec_lo, s2
	s_delay_alu instid0(SALU_CYCLE_1)
	s_and_b32 exec_lo, exec_lo, s0
	s_cbranch_execz .LBB9_16
; %bb.14:
	s_lshl_b64 s[2:3], s[16:17], 1
	s_lshl_b64 s[4:5], s[12:13], 1
	v_lshlrev_b64 v[3:4], 1, v[1:2]
	s_add_u32 s0, s2, s4
	s_addc_u32 s4, s3, s5
	s_lshl_b64 s[2:3], s[10:11], 1
	v_mov_b32_e32 v0, 0
	s_add_u32 s0, s0, s2
	s_addc_u32 s2, s4, s3
	s_add_u32 s0, s6, s0
	s_addc_u32 s2, s7, s2
	v_add_co_u32 v3, vcc_lo, s0, v3
	v_add_co_ci_u32_e32 v4, vcc_lo, s2, v4, vcc_lo
	s_lshl_b32 s2, s1, 1
	s_mov_b32 s3, 0
.LBB9_15:                               ; =>This Inner Loop Header: Depth=1
	v_add_co_u32 v1, vcc_lo, v1, s1
	v_add_co_ci_u32_e32 v2, vcc_lo, 0, v2, vcc_lo
	global_store_b16 v[3:4], v0, off
	v_add_co_u32 v3, s0, v3, s2
	v_cmp_le_i64_e32 vcc_lo, s[8:9], v[1:2]
	v_add_co_ci_u32_e64 v4, s0, 0, v4, s0
	s_or_b32 s3, vcc_lo, s3
	s_delay_alu instid0(SALU_CYCLE_1)
	s_and_not1_b32 exec_lo, exec_lo, s3
	s_cbranch_execnz .LBB9_15
.LBB9_16:
	s_nop 0
	s_sendmsg sendmsg(MSG_DEALLOC_VGPRS)
	s_endpgm
	.section	.rodata,"a",@progbits
	.p2align	6, 0x0
	.amdhsa_kernel _ZL10tri_kernelI14__hip_bfloat16Lb1ELi1EEvPKT_PS1_llllllllllll
		.amdhsa_group_segment_fixed_size 0
		.amdhsa_private_segment_fixed_size 0
		.amdhsa_kernarg_size 368
		.amdhsa_user_sgpr_count 13
		.amdhsa_user_sgpr_dispatch_ptr 0
		.amdhsa_user_sgpr_queue_ptr 0
		.amdhsa_user_sgpr_kernarg_segment_ptr 1
		.amdhsa_user_sgpr_dispatch_id 0
		.amdhsa_user_sgpr_private_segment_size 0
		.amdhsa_wavefront_size32 1
		.amdhsa_uses_dynamic_stack 0
		.amdhsa_enable_private_segment 0
		.amdhsa_system_sgpr_workgroup_id_x 1
		.amdhsa_system_sgpr_workgroup_id_y 1
		.amdhsa_system_sgpr_workgroup_id_z 1
		.amdhsa_system_sgpr_workgroup_info 0
		.amdhsa_system_vgpr_workitem_id 0
		.amdhsa_next_free_vgpr 16
		.amdhsa_next_free_sgpr 32
		.amdhsa_reserve_vcc 1
		.amdhsa_float_round_mode_32 0
		.amdhsa_float_round_mode_16_64 0
		.amdhsa_float_denorm_mode_32 3
		.amdhsa_float_denorm_mode_16_64 3
		.amdhsa_dx10_clamp 1
		.amdhsa_ieee_mode 1
		.amdhsa_fp16_overflow 0
		.amdhsa_workgroup_processor_mode 1
		.amdhsa_memory_ordered 1
		.amdhsa_forward_progress 0
		.amdhsa_shared_vgpr_count 0
		.amdhsa_exception_fp_ieee_invalid_op 0
		.amdhsa_exception_fp_denorm_src 0
		.amdhsa_exception_fp_ieee_div_zero 0
		.amdhsa_exception_fp_ieee_overflow 0
		.amdhsa_exception_fp_ieee_underflow 0
		.amdhsa_exception_fp_ieee_inexact 0
		.amdhsa_exception_int_div_zero 0
	.end_amdhsa_kernel
	.section	.text._ZL10tri_kernelI14__hip_bfloat16Lb1ELi1EEvPKT_PS1_llllllllllll,"axG",@progbits,_ZL10tri_kernelI14__hip_bfloat16Lb1ELi1EEvPKT_PS1_llllllllllll,comdat
.Lfunc_end9:
	.size	_ZL10tri_kernelI14__hip_bfloat16Lb1ELi1EEvPKT_PS1_llllllllllll, .Lfunc_end9-_ZL10tri_kernelI14__hip_bfloat16Lb1ELi1EEvPKT_PS1_llllllllllll
                                        ; -- End function
	.section	.AMDGPU.csdata,"",@progbits
; Kernel info:
; codeLenInByte = 1960
; NumSgprs: 34
; NumVgprs: 16
; ScratchSize: 0
; MemoryBound: 0
; FloatMode: 240
; IeeeMode: 1
; LDSByteSize: 0 bytes/workgroup (compile time only)
; SGPRBlocks: 4
; VGPRBlocks: 1
; NumSGPRsForWavesPerEU: 34
; NumVGPRsForWavesPerEU: 16
; Occupancy: 16
; WaveLimiterHint : 0
; COMPUTE_PGM_RSRC2:SCRATCH_EN: 0
; COMPUTE_PGM_RSRC2:USER_SGPR: 13
; COMPUTE_PGM_RSRC2:TRAP_HANDLER: 0
; COMPUTE_PGM_RSRC2:TGID_X_EN: 1
; COMPUTE_PGM_RSRC2:TGID_Y_EN: 1
; COMPUTE_PGM_RSRC2:TGID_Z_EN: 1
; COMPUTE_PGM_RSRC2:TIDIG_COMP_CNT: 0
	.section	.text._ZL10tri_kernelI14__hip_bfloat16Lb0ELi0EEvPKT_PS1_llllllllllll,"axG",@progbits,_ZL10tri_kernelI14__hip_bfloat16Lb0ELi0EEvPKT_PS1_llllllllllll,comdat
	.globl	_ZL10tri_kernelI14__hip_bfloat16Lb0ELi0EEvPKT_PS1_llllllllllll ; -- Begin function _ZL10tri_kernelI14__hip_bfloat16Lb0ELi0EEvPKT_PS1_llllllllllll
	.p2align	8
	.type	_ZL10tri_kernelI14__hip_bfloat16Lb0ELi0EEvPKT_PS1_llllllllllll,@function
_ZL10tri_kernelI14__hip_bfloat16Lb0ELi0EEvPKT_PS1_llllllllllll: ; @_ZL10tri_kernelI14__hip_bfloat16Lb0ELi0EEvPKT_PS1_llllllllllll
; %bb.0:
	s_clause 0x1
	s_load_b128 s[16:19], s[0:1], 0x20
	s_load_b256 s[4:11], s[0:1], 0x0
	s_mov_b32 s25, 0
	s_mov_b32 s24, s15
	;; [unrolled: 1-line block ×5, first 2 shown]
	s_waitcnt lgkmcnt(0)
	v_cmp_ge_i64_e64 s2, s[24:25], s[18:19]
	v_cmp_ge_i64_e64 s3, s[14:15], s[16:17]
	;; [unrolled: 1-line block ×3, first 2 shown]
	s_delay_alu instid0(VALU_DEP_2)
	s_or_b32 s2, s3, s2
	s_delay_alu instid0(VALU_DEP_1) | instid1(SALU_CYCLE_1)
	s_or_b32 s2, s10, s2
	s_delay_alu instid0(SALU_CYCLE_1)
	s_and_b32 vcc_lo, exec_lo, s2
	s_cbranch_vccnz .LBB10_16
; %bb.1:
	s_clause 0x1
	s_load_b128 s[16:19], s[0:1], 0x58
	s_load_b64 s[2:3], s[0:1], 0x68
	v_mov_b32_e32 v1, 0
	s_delay_alu instid0(VALU_DEP_1)
	v_dual_mov_b32 v3, v1 :: v_dual_mov_b32 v2, v0
	s_waitcnt lgkmcnt(0)
	s_mul_i32 s11, s14, s19
	s_mul_hi_u32 s15, s14, s18
	s_mul_i32 s10, s14, s18
	s_mul_i32 s3, s24, s3
	s_mul_hi_u32 s18, s24, s2
	s_add_i32 s11, s15, s11
	s_add_i32 s19, s18, s3
	s_mul_i32 s18, s24, s2
	s_mov_b32 s3, exec_lo
	v_cmpx_gt_u32_e64 s12, v0
	s_cbranch_execz .LBB10_13
; %bb.2:
	s_load_b32 s2, s[0:1], 0x7c
	s_waitcnt lgkmcnt(0)
	s_and_b32 s15, s2, 0xffff
	s_delay_alu instid0(SALU_CYCLE_1) | instskip(NEXT) | instid1(VALU_DEP_1)
	v_add_co_u32 v4, s2, v0, s15
	v_add_co_ci_u32_e64 v5, null, 0, 0, s2
	s_delay_alu instid0(VALU_DEP_1) | instskip(SKIP_1) | instid1(VALU_DEP_2)
	v_cmp_gt_u64_e64 s2, s[12:13], v[4:5]
	v_cmp_lt_u64_e32 vcc_lo, s[12:13], v[4:5]
	v_cndmask_b32_e64 v8, 0, 1, s2
	v_cndmask_b32_e32 v6, 0, v5, vcc_lo
	v_cndmask_b32_e32 v7, s12, v4, vcc_lo
	s_mov_b32 s2, exec_lo
	s_delay_alu instid0(VALU_DEP_3) | instskip(SKIP_1) | instid1(VALU_DEP_2)
	v_add_co_u32 v4, vcc_lo, v4, v8
	v_add_co_ci_u32_e32 v5, vcc_lo, 0, v5, vcc_lo
	v_sub_co_u32 v9, vcc_lo, v7, v4
	v_mov_b32_e32 v4, v1
	s_delay_alu instid0(VALU_DEP_3) | instskip(NEXT) | instid1(VALU_DEP_1)
	v_sub_co_ci_u32_e32 v5, vcc_lo, v6, v5, vcc_lo
                                        ; implicit-def: $vgpr6_vgpr7
	v_cmpx_ne_u64_e32 0, v[4:5]
	s_xor_b32 s20, exec_lo, s2
	s_cbranch_execz .LBB10_4
; %bb.3:
	v_cvt_f32_u32_e32 v4, s15
	s_sub_u32 s2, 0, s15
	s_subb_u32 s21, 0, 0
	s_delay_alu instid0(VALU_DEP_1) | instskip(NEXT) | instid1(VALU_DEP_1)
	v_fmamk_f32 v4, 0, 0x4f800000, v4
	v_rcp_f32_e32 v4, v4
	s_waitcnt_depctr 0xfff
	v_mul_f32_e32 v4, 0x5f7ffffc, v4
	s_delay_alu instid0(VALU_DEP_1) | instskip(NEXT) | instid1(VALU_DEP_1)
	v_mul_f32_e32 v6, 0x2f800000, v4
	v_trunc_f32_e32 v6, v6
	s_delay_alu instid0(VALU_DEP_1) | instskip(SKIP_1) | instid1(VALU_DEP_2)
	v_fmamk_f32 v4, v6, 0xcf800000, v4
	v_cvt_u32_f32_e32 v6, v6
	v_cvt_u32_f32_e32 v4, v4
	s_delay_alu instid0(VALU_DEP_2) | instskip(NEXT) | instid1(VALU_DEP_2)
	v_mul_lo_u32 v7, s2, v6
	v_mul_hi_u32 v10, s2, v4
	v_mul_lo_u32 v11, s21, v4
	s_delay_alu instid0(VALU_DEP_2) | instskip(SKIP_1) | instid1(VALU_DEP_2)
	v_add_nc_u32_e32 v7, v10, v7
	v_mul_lo_u32 v10, s2, v4
	v_add_nc_u32_e32 v7, v7, v11
	s_delay_alu instid0(VALU_DEP_2) | instskip(NEXT) | instid1(VALU_DEP_2)
	v_mul_hi_u32 v11, v4, v10
	v_mul_lo_u32 v12, v4, v7
	v_mul_hi_u32 v13, v4, v7
	v_mul_hi_u32 v14, v6, v10
	v_mul_lo_u32 v10, v6, v10
	v_mul_hi_u32 v15, v6, v7
	v_mul_lo_u32 v7, v6, v7
	v_add_co_u32 v11, vcc_lo, v11, v12
	v_add_co_ci_u32_e32 v12, vcc_lo, 0, v13, vcc_lo
	s_delay_alu instid0(VALU_DEP_2) | instskip(NEXT) | instid1(VALU_DEP_2)
	v_add_co_u32 v10, vcc_lo, v11, v10
	v_add_co_ci_u32_e32 v10, vcc_lo, v12, v14, vcc_lo
	v_add_co_ci_u32_e32 v11, vcc_lo, 0, v15, vcc_lo
	s_delay_alu instid0(VALU_DEP_2) | instskip(NEXT) | instid1(VALU_DEP_2)
	v_add_co_u32 v7, vcc_lo, v10, v7
	v_add_co_ci_u32_e32 v10, vcc_lo, 0, v11, vcc_lo
	s_delay_alu instid0(VALU_DEP_2) | instskip(NEXT) | instid1(VALU_DEP_2)
	v_add_co_u32 v4, vcc_lo, v4, v7
	v_add_co_ci_u32_e32 v6, vcc_lo, v6, v10, vcc_lo
	s_delay_alu instid0(VALU_DEP_2) | instskip(SKIP_1) | instid1(VALU_DEP_3)
	v_mul_hi_u32 v7, s2, v4
	v_mul_lo_u32 v11, s21, v4
	v_mul_lo_u32 v10, s2, v6
	s_delay_alu instid0(VALU_DEP_1) | instskip(SKIP_1) | instid1(VALU_DEP_2)
	v_add_nc_u32_e32 v7, v7, v10
	v_mul_lo_u32 v10, s2, v4
	v_add_nc_u32_e32 v7, v7, v11
	s_delay_alu instid0(VALU_DEP_2) | instskip(NEXT) | instid1(VALU_DEP_2)
	v_mul_hi_u32 v11, v4, v10
	v_mul_lo_u32 v12, v4, v7
	v_mul_hi_u32 v13, v4, v7
	v_mul_hi_u32 v14, v6, v10
	v_mul_lo_u32 v10, v6, v10
	v_mul_hi_u32 v15, v6, v7
	v_mul_lo_u32 v7, v6, v7
	v_add_co_u32 v11, vcc_lo, v11, v12
	v_add_co_ci_u32_e32 v12, vcc_lo, 0, v13, vcc_lo
	s_delay_alu instid0(VALU_DEP_2) | instskip(NEXT) | instid1(VALU_DEP_2)
	v_add_co_u32 v10, vcc_lo, v11, v10
	v_add_co_ci_u32_e32 v10, vcc_lo, v12, v14, vcc_lo
	v_add_co_ci_u32_e32 v11, vcc_lo, 0, v15, vcc_lo
	s_delay_alu instid0(VALU_DEP_2) | instskip(NEXT) | instid1(VALU_DEP_2)
	v_add_co_u32 v7, vcc_lo, v10, v7
	v_add_co_ci_u32_e32 v10, vcc_lo, 0, v11, vcc_lo
	s_delay_alu instid0(VALU_DEP_2) | instskip(NEXT) | instid1(VALU_DEP_2)
	v_add_co_u32 v4, vcc_lo, v4, v7
	v_add_co_ci_u32_e32 v14, vcc_lo, v6, v10, vcc_lo
	s_delay_alu instid0(VALU_DEP_2) | instskip(SKIP_1) | instid1(VALU_DEP_3)
	v_mul_hi_u32 v15, v9, v4
	v_mad_u64_u32 v[10:11], null, v5, v4, 0
	v_mad_u64_u32 v[6:7], null, v9, v14, 0
	;; [unrolled: 1-line block ×3, first 2 shown]
	s_delay_alu instid0(VALU_DEP_2) | instskip(NEXT) | instid1(VALU_DEP_3)
	v_add_co_u32 v4, vcc_lo, v15, v6
	v_add_co_ci_u32_e32 v6, vcc_lo, 0, v7, vcc_lo
	s_delay_alu instid0(VALU_DEP_2) | instskip(NEXT) | instid1(VALU_DEP_2)
	v_add_co_u32 v4, vcc_lo, v4, v10
	v_add_co_ci_u32_e32 v4, vcc_lo, v6, v11, vcc_lo
	v_add_co_ci_u32_e32 v6, vcc_lo, 0, v13, vcc_lo
	s_delay_alu instid0(VALU_DEP_2) | instskip(NEXT) | instid1(VALU_DEP_2)
	v_add_co_u32 v12, vcc_lo, v4, v12
	v_add_co_ci_u32_e32 v13, vcc_lo, 0, v6, vcc_lo
	s_delay_alu instid0(VALU_DEP_2) | instskip(NEXT) | instid1(VALU_DEP_1)
	v_mad_u64_u32 v[6:7], null, s15, v12, 0
	v_mov_b32_e32 v4, v7
	s_delay_alu instid0(VALU_DEP_1) | instskip(NEXT) | instid1(VALU_DEP_3)
	v_mad_u64_u32 v[10:11], null, s15, v13, v[4:5]
	v_sub_co_u32 v4, vcc_lo, v9, v6
	s_delay_alu instid0(VALU_DEP_2) | instskip(NEXT) | instid1(VALU_DEP_2)
	v_sub_co_ci_u32_e32 v5, vcc_lo, v5, v10, vcc_lo
	v_sub_co_u32 v6, vcc_lo, v4, s15
	s_delay_alu instid0(VALU_DEP_2) | instskip(NEXT) | instid1(VALU_DEP_2)
	v_subrev_co_ci_u32_e32 v7, vcc_lo, 0, v5, vcc_lo
	v_cmp_le_u32_e32 vcc_lo, s15, v6
	v_cmp_eq_u32_e64 s2, 0, v5
	v_cndmask_b32_e64 v6, 0, -1, vcc_lo
	v_add_co_u32 v9, vcc_lo, v12, 2
	v_add_co_ci_u32_e32 v10, vcc_lo, 0, v13, vcc_lo
	v_cmp_le_u32_e32 vcc_lo, s15, v4
	v_cndmask_b32_e64 v4, 0, -1, vcc_lo
	v_cmp_eq_u32_e32 vcc_lo, 0, v7
	s_delay_alu instid0(VALU_DEP_2) | instskip(SKIP_3) | instid1(VALU_DEP_3)
	v_cndmask_b32_e64 v4, -1, v4, s2
	v_cndmask_b32_e32 v6, -1, v6, vcc_lo
	v_add_co_u32 v7, vcc_lo, v12, 1
	v_add_co_ci_u32_e32 v11, vcc_lo, 0, v13, vcc_lo
	v_cmp_ne_u32_e32 vcc_lo, 0, v6
	s_delay_alu instid0(VALU_DEP_2) | instskip(NEXT) | instid1(VALU_DEP_4)
	v_cndmask_b32_e32 v5, v11, v10, vcc_lo
	v_cndmask_b32_e32 v6, v7, v9, vcc_lo
	v_cmp_ne_u32_e32 vcc_lo, 0, v4
                                        ; implicit-def: $vgpr9
	s_delay_alu instid0(VALU_DEP_2)
	v_dual_cndmask_b32 v7, v13, v5 :: v_dual_cndmask_b32 v6, v12, v6
.LBB10_4:
	s_and_not1_saveexec_b32 s2, s20
	s_cbranch_execz .LBB10_6
; %bb.5:
	v_cvt_f32_u32_e32 v4, s15
	s_sub_i32 s20, 0, s15
	s_delay_alu instid0(VALU_DEP_1) | instskip(SKIP_2) | instid1(VALU_DEP_1)
	v_rcp_iflag_f32_e32 v4, v4
	s_waitcnt_depctr 0xfff
	v_mul_f32_e32 v4, 0x4f7ffffe, v4
	v_cvt_u32_f32_e32 v4, v4
	s_delay_alu instid0(VALU_DEP_1) | instskip(NEXT) | instid1(VALU_DEP_1)
	v_mul_lo_u32 v5, s20, v4
	v_mul_hi_u32 v5, v4, v5
	s_delay_alu instid0(VALU_DEP_1) | instskip(NEXT) | instid1(VALU_DEP_1)
	v_add_nc_u32_e32 v4, v4, v5
	v_mul_hi_u32 v4, v9, v4
	s_delay_alu instid0(VALU_DEP_1) | instskip(SKIP_1) | instid1(VALU_DEP_2)
	v_mul_lo_u32 v5, v4, s15
	v_add_nc_u32_e32 v6, 1, v4
	v_sub_nc_u32_e32 v5, v9, v5
	s_delay_alu instid0(VALU_DEP_1) | instskip(SKIP_1) | instid1(VALU_DEP_2)
	v_subrev_nc_u32_e32 v7, s15, v5
	v_cmp_le_u32_e32 vcc_lo, s15, v5
	v_cndmask_b32_e32 v5, v5, v7, vcc_lo
	v_dual_mov_b32 v7, 0 :: v_dual_cndmask_b32 v4, v4, v6
	s_delay_alu instid0(VALU_DEP_2) | instskip(NEXT) | instid1(VALU_DEP_2)
	v_cmp_le_u32_e32 vcc_lo, s15, v5
	v_add_nc_u32_e32 v6, 1, v4
	s_delay_alu instid0(VALU_DEP_1)
	v_cndmask_b32_e32 v6, v4, v6, vcc_lo
.LBB10_6:
	s_or_b32 exec_lo, exec_lo, s2
	s_delay_alu instid0(VALU_DEP_1) | instskip(SKIP_2) | instid1(VALU_DEP_3)
	v_add_co_u32 v4, vcc_lo, v6, v8
	v_add_co_ci_u32_e32 v5, vcc_lo, 0, v7, vcc_lo
	v_cmp_eq_u16_e64 s2, s15, 1
	v_add_co_u32 v6, vcc_lo, v4, 1
	s_delay_alu instid0(VALU_DEP_3) | instskip(SKIP_3) | instid1(VALU_DEP_1)
	v_add_co_ci_u32_e32 v7, vcc_lo, 0, v5, vcc_lo
	s_mul_i32 s20, s12, s17
	s_mul_hi_u32 s21, s12, s16
	s_mul_i32 s26, s12, s16
	v_cmp_lt_u64_e32 vcc_lo, 15, v[6:7]
	s_add_i32 s27, s21, s20
	s_and_b32 s20, vcc_lo, s2
	s_mov_b32 s2, -1
	s_and_saveexec_b32 s25, s20
	s_cbranch_execz .LBB10_10
; %bb.7:
	s_lshl_b64 s[20:21], s[26:27], 1
	v_dual_mov_b32 v9, v7 :: v_dual_and_b32 v8, -16, v6
	s_add_u32 s2, s6, s20
	s_addc_u32 s22, s7, s21
	s_lshl_b64 s[20:21], s[10:11], 1
	s_delay_alu instid0(SALU_CYCLE_1)
	s_add_u32 s2, s2, s20
	s_addc_u32 s22, s22, s21
	s_lshl_b64 s[20:21], s[18:19], 1
	v_mov_b32_e32 v13, v9
	s_add_u32 s2, s2, s20
	s_mov_b32 s20, 0
	s_addc_u32 s28, s22, s21
	s_mov_b32 s21, s20
	s_mov_b32 s22, s20
	;; [unrolled: 1-line block ×3, first 2 shown]
	v_lshlrev_b32_e32 v2, 1, v0
	v_mov_b32_e32 v12, v8
	s_delay_alu instid0(VALU_DEP_2)
	v_add_co_u32 v10, s2, s2, v2
	v_dual_mov_b32 v2, s20 :: v_dual_mov_b32 v5, s23
	v_mov_b32_e32 v4, s22
	v_add_co_ci_u32_e64 v11, null, s28, 0, s2
	v_mov_b32_e32 v3, s21
	s_lshl_b32 s21, s15, 5
.LBB10_8:                               ; =>This Inner Loop Header: Depth=1
	v_add_co_u32 v12, vcc_lo, v12, -16
	v_add_co_ci_u32_e32 v13, vcc_lo, -1, v13, vcc_lo
	s_clause 0x1
	global_store_b128 v[10:11], v[2:5], off
	global_store_b128 v[10:11], v[2:5], off offset:16
	v_add_co_u32 v10, s2, v10, s21
	v_cmp_eq_u64_e32 vcc_lo, 0, v[12:13]
	v_add_co_ci_u32_e64 v11, s2, 0, v11, s2
	s_or_b32 s20, vcc_lo, s20
	s_delay_alu instid0(SALU_CYCLE_1)
	s_and_not1_b32 exec_lo, exec_lo, s20
	s_cbranch_execnz .LBB10_8
; %bb.9:
	s_or_b32 exec_lo, exec_lo, s20
	v_mad_u64_u32 v[2:3], null, v8, s15, v[0:1]
	v_cmp_ne_u64_e32 vcc_lo, v[6:7], v[8:9]
	s_or_not1_b32 s2, vcc_lo, exec_lo
	s_delay_alu instid0(VALU_DEP_2) | instskip(NEXT) | instid1(VALU_DEP_1)
	v_mov_b32_e32 v1, v3
	v_mad_u64_u32 v[3:4], null, v9, s15, v[1:2]
                                        ; kill: def $vgpr1 killed $sgpr0 killed $exec
.LBB10_10:
	s_or_b32 exec_lo, exec_lo, s25
	s_delay_alu instid0(SALU_CYCLE_1)
	s_and_b32 exec_lo, exec_lo, s2
	s_cbranch_execz .LBB10_13
; %bb.11:
	s_lshl_b64 s[20:21], s[18:19], 1
	s_lshl_b64 s[22:23], s[10:11], 1
	s_delay_alu instid0(VALU_DEP_1)
	v_lshlrev_b64 v[4:5], 1, v[2:3]
	s_add_u32 s2, s20, s22
	s_addc_u32 s22, s21, s23
	s_lshl_b64 s[20:21], s[26:27], 1
	v_mov_b32_e32 v1, 0
	s_add_u32 s2, s2, s20
	s_addc_u32 s20, s22, s21
	s_add_u32 s2, s6, s2
	s_addc_u32 s20, s7, s20
	v_add_co_u32 v4, vcc_lo, s2, v4
	v_add_co_ci_u32_e32 v5, vcc_lo, s20, v5, vcc_lo
	s_lshl_b32 s20, s15, 1
	s_mov_b32 s21, 0
.LBB10_12:                              ; =>This Inner Loop Header: Depth=1
	v_add_co_u32 v2, vcc_lo, v2, s15
	v_add_co_ci_u32_e32 v3, vcc_lo, 0, v3, vcc_lo
	global_store_b16 v[4:5], v1, off
	v_add_co_u32 v4, s2, v4, s20
	v_cmp_le_u64_e32 vcc_lo, s[12:13], v[2:3]
	v_add_co_ci_u32_e64 v5, s2, 0, v5, s2
	s_or_b32 s21, vcc_lo, s21
	s_delay_alu instid0(SALU_CYCLE_1)
	s_and_not1_b32 exec_lo, exec_lo, s21
	s_cbranch_execnz .LBB10_12
.LBB10_13:
	s_or_b32 exec_lo, exec_lo, s3
	v_add_co_u32 v1, s2, v0, s12
	s_delay_alu instid0(VALU_DEP_1) | instskip(SKIP_1) | instid1(VALU_DEP_1)
	v_add_co_ci_u32_e64 v2, null, 0, 0, s2
	s_mov_b32 s2, exec_lo
	v_cmpx_gt_i64_e64 s[8:9], v[1:2]
	s_cbranch_execz .LBB10_16
; %bb.14:
	s_clause 0x2
	s_load_b32 s13, s[0:1], 0x7c
	s_load_b64 s[20:21], s[0:1], 0x48
	s_load_b128 s[0:3], s[0:1], 0x38
	s_lshl_b64 s[18:19], s[18:19], 1
	s_lshl_b64 s[22:23], s[10:11], 1
	v_lshlrev_b32_e32 v4, 1, v0
	s_waitcnt lgkmcnt(0)
	s_and_b32 s10, s13, 0xffff
	s_add_u32 s18, s18, s22
	s_addc_u32 s19, s19, s23
	s_lshl_b64 s[16:17], s[16:17], 1
	s_mul_i32 s3, s3, s14
	s_mul_hi_u32 s15, s2, s14
	s_mul_i32 s2, s2, s14
	s_add_u32 s14, s16, 2
	s_addc_u32 s16, s17, 0
	s_mul_hi_u32 s17, s14, s12
	s_mul_i32 s16, s16, s12
	s_mul_i32 s14, s14, s12
	s_add_i32 s17, s17, s16
	s_add_u32 s14, s18, s14
	s_mul_i32 s11, s21, s24
	s_mul_hi_u32 s13, s20, s24
	s_addc_u32 s16, s19, s17
	s_add_u32 s17, s6, s14
	s_mul_i32 s20, s20, s24
	s_addc_u32 s7, s7, s16
	s_add_i32 s21, s13, s11
	s_add_i32 s3, s15, s3
	s_lshl_b64 s[14:15], s[20:21], 1
	s_lshl_b64 s[2:3], s[2:3], 1
	s_lshl_b32 s6, s10, 1
	s_add_u32 s2, s14, s2
	s_addc_u32 s3, s15, s3
	s_lshl_b64 s[0:1], s[0:1], 1
	v_add_co_u32 v0, s11, s17, v4
	s_add_u32 s0, s0, 2
	s_addc_u32 s1, s1, 0
	v_add_co_ci_u32_e64 v3, null, s7, 0, s11
	s_mul_hi_u32 s7, s0, s12
	s_mul_i32 s1, s1, s12
	s_mul_i32 s0, s0, s12
	s_add_i32 s7, s7, s1
	s_add_u32 s0, s2, s0
	s_addc_u32 s1, s3, s7
	s_add_u32 s0, s4, s0
	s_addc_u32 s1, s5, s1
	v_add_co_u32 v4, s0, s0, v4
	s_delay_alu instid0(VALU_DEP_1)
	v_add_co_ci_u32_e64 v5, null, s1, 0, s0
	s_mov_b32 s1, 0
	s_mov_b64 s[2:3], 0
	.p2align	6
.LBB10_15:                              ; =>This Inner Loop Header: Depth=1
	s_delay_alu instid0(VALU_DEP_2) | instid1(SALU_CYCLE_1)
	v_add_co_u32 v6, vcc_lo, v4, s2
	s_delay_alu instid0(VALU_DEP_2)
	v_add_co_ci_u32_e32 v7, vcc_lo, s3, v5, vcc_lo
	v_add_co_u32 v1, vcc_lo, v1, s10
	v_add_co_ci_u32_e32 v2, vcc_lo, 0, v2, vcc_lo
	global_load_u16 v8, v[6:7], off
	v_add_co_u32 v6, s0, v0, s2
	v_cmp_le_i64_e32 vcc_lo, s[8:9], v[1:2]
	v_add_co_ci_u32_e64 v7, s0, s3, v3, s0
	s_add_u32 s2, s2, s6
	s_addc_u32 s3, s3, 0
	s_or_b32 s1, vcc_lo, s1
	s_waitcnt vmcnt(0)
	global_store_b16 v[6:7], v8, off
	s_and_not1_b32 exec_lo, exec_lo, s1
	s_cbranch_execnz .LBB10_15
.LBB10_16:
	s_nop 0
	s_sendmsg sendmsg(MSG_DEALLOC_VGPRS)
	s_endpgm
	.section	.rodata,"a",@progbits
	.p2align	6, 0x0
	.amdhsa_kernel _ZL10tri_kernelI14__hip_bfloat16Lb0ELi0EEvPKT_PS1_llllllllllll
		.amdhsa_group_segment_fixed_size 0
		.amdhsa_private_segment_fixed_size 0
		.amdhsa_kernarg_size 368
		.amdhsa_user_sgpr_count 13
		.amdhsa_user_sgpr_dispatch_ptr 0
		.amdhsa_user_sgpr_queue_ptr 0
		.amdhsa_user_sgpr_kernarg_segment_ptr 1
		.amdhsa_user_sgpr_dispatch_id 0
		.amdhsa_user_sgpr_private_segment_size 0
		.amdhsa_wavefront_size32 1
		.amdhsa_uses_dynamic_stack 0
		.amdhsa_enable_private_segment 0
		.amdhsa_system_sgpr_workgroup_id_x 1
		.amdhsa_system_sgpr_workgroup_id_y 1
		.amdhsa_system_sgpr_workgroup_id_z 1
		.amdhsa_system_sgpr_workgroup_info 0
		.amdhsa_system_vgpr_workitem_id 0
		.amdhsa_next_free_vgpr 16
		.amdhsa_next_free_sgpr 29
		.amdhsa_reserve_vcc 1
		.amdhsa_float_round_mode_32 0
		.amdhsa_float_round_mode_16_64 0
		.amdhsa_float_denorm_mode_32 3
		.amdhsa_float_denorm_mode_16_64 3
		.amdhsa_dx10_clamp 1
		.amdhsa_ieee_mode 1
		.amdhsa_fp16_overflow 0
		.amdhsa_workgroup_processor_mode 1
		.amdhsa_memory_ordered 1
		.amdhsa_forward_progress 0
		.amdhsa_shared_vgpr_count 0
		.amdhsa_exception_fp_ieee_invalid_op 0
		.amdhsa_exception_fp_denorm_src 0
		.amdhsa_exception_fp_ieee_div_zero 0
		.amdhsa_exception_fp_ieee_overflow 0
		.amdhsa_exception_fp_ieee_underflow 0
		.amdhsa_exception_fp_ieee_inexact 0
		.amdhsa_exception_int_div_zero 0
	.end_amdhsa_kernel
	.section	.text._ZL10tri_kernelI14__hip_bfloat16Lb0ELi0EEvPKT_PS1_llllllllllll,"axG",@progbits,_ZL10tri_kernelI14__hip_bfloat16Lb0ELi0EEvPKT_PS1_llllllllllll,comdat
.Lfunc_end10:
	.size	_ZL10tri_kernelI14__hip_bfloat16Lb0ELi0EEvPKT_PS1_llllllllllll, .Lfunc_end10-_ZL10tri_kernelI14__hip_bfloat16Lb0ELi0EEvPKT_PS1_llllllllllll
                                        ; -- End function
	.section	.AMDGPU.csdata,"",@progbits
; Kernel info:
; codeLenInByte = 1956
; NumSgprs: 31
; NumVgprs: 16
; ScratchSize: 0
; MemoryBound: 0
; FloatMode: 240
; IeeeMode: 1
; LDSByteSize: 0 bytes/workgroup (compile time only)
; SGPRBlocks: 3
; VGPRBlocks: 1
; NumSGPRsForWavesPerEU: 31
; NumVGPRsForWavesPerEU: 16
; Occupancy: 16
; WaveLimiterHint : 0
; COMPUTE_PGM_RSRC2:SCRATCH_EN: 0
; COMPUTE_PGM_RSRC2:USER_SGPR: 13
; COMPUTE_PGM_RSRC2:TRAP_HANDLER: 0
; COMPUTE_PGM_RSRC2:TGID_X_EN: 1
; COMPUTE_PGM_RSRC2:TGID_Y_EN: 1
; COMPUTE_PGM_RSRC2:TGID_Z_EN: 1
; COMPUTE_PGM_RSRC2:TIDIG_COMP_CNT: 0
	.section	.text._ZL10tri_kernelI14__hip_bfloat16Lb0ELi1EEvPKT_PS1_llllllllllll,"axG",@progbits,_ZL10tri_kernelI14__hip_bfloat16Lb0ELi1EEvPKT_PS1_llllllllllll,comdat
	.globl	_ZL10tri_kernelI14__hip_bfloat16Lb0ELi1EEvPKT_PS1_llllllllllll ; -- Begin function _ZL10tri_kernelI14__hip_bfloat16Lb0ELi1EEvPKT_PS1_llllllllllll
	.p2align	8
	.type	_ZL10tri_kernelI14__hip_bfloat16Lb0ELi1EEvPKT_PS1_llllllllllll,@function
_ZL10tri_kernelI14__hip_bfloat16Lb0ELi1EEvPKT_PS1_llllllllllll: ; @_ZL10tri_kernelI14__hip_bfloat16Lb0ELi1EEvPKT_PS1_llllllllllll
; %bb.0:
	s_clause 0x1
	s_load_b128 s[16:19], s[0:1], 0x20
	s_load_b256 s[4:11], s[0:1], 0x0
	s_mov_b32 s25, 0
	s_mov_b32 s24, s15
	;; [unrolled: 1-line block ×5, first 2 shown]
	s_waitcnt lgkmcnt(0)
	v_cmp_ge_i64_e64 s2, s[24:25], s[18:19]
	v_cmp_ge_i64_e64 s3, s[14:15], s[16:17]
	;; [unrolled: 1-line block ×3, first 2 shown]
	s_delay_alu instid0(VALU_DEP_2)
	s_or_b32 s2, s3, s2
	s_delay_alu instid0(VALU_DEP_1) | instid1(SALU_CYCLE_1)
	s_or_b32 s2, s10, s2
	s_delay_alu instid0(SALU_CYCLE_1)
	s_and_b32 vcc_lo, exec_lo, s2
	s_cbranch_vccnz .LBB11_16
; %bb.1:
	s_clause 0x1
	s_load_b128 s[16:19], s[0:1], 0x58
	s_load_b64 s[2:3], s[0:1], 0x68
	v_mov_b32_e32 v1, 0
	s_add_u32 s26, s12, 1
	s_addc_u32 s27, 0, 0
	s_delay_alu instid0(VALU_DEP_1)
	v_dual_mov_b32 v3, v1 :: v_dual_mov_b32 v2, v0
	s_waitcnt lgkmcnt(0)
	s_mul_i32 s11, s14, s19
	s_mul_hi_u32 s15, s14, s18
	s_mul_i32 s10, s14, s18
	s_mul_i32 s3, s24, s3
	s_mul_hi_u32 s18, s24, s2
	s_add_i32 s11, s15, s11
	s_add_i32 s19, s18, s3
	s_mul_i32 s18, s24, s2
	s_mov_b32 s3, exec_lo
	v_cmpx_ge_u32_e64 s12, v0
	s_cbranch_execz .LBB11_13
; %bb.2:
	s_load_b32 s2, s[0:1], 0x7c
	s_waitcnt lgkmcnt(0)
	s_and_b32 s15, s2, 0xffff
	s_delay_alu instid0(SALU_CYCLE_1) | instskip(NEXT) | instid1(VALU_DEP_1)
	v_add_co_u32 v4, s2, v0, s15
	v_add_co_ci_u32_e64 v5, null, 0, 0, s2
	s_delay_alu instid0(VALU_DEP_1) | instskip(SKIP_1) | instid1(VALU_DEP_2)
	v_cmp_ge_u64_e64 s2, s[12:13], v[4:5]
	v_cmp_lt_u64_e32 vcc_lo, s[26:27], v[4:5]
	v_cndmask_b32_e64 v8, 0, 1, s2
	v_cndmask_b32_e32 v6, s27, v5, vcc_lo
	v_cndmask_b32_e32 v7, s26, v4, vcc_lo
	s_mov_b32 s2, exec_lo
	s_delay_alu instid0(VALU_DEP_3) | instskip(SKIP_1) | instid1(VALU_DEP_2)
	v_add_co_u32 v4, vcc_lo, v4, v8
	v_add_co_ci_u32_e32 v5, vcc_lo, 0, v5, vcc_lo
	v_sub_co_u32 v9, vcc_lo, v7, v4
	v_mov_b32_e32 v4, v1
	s_delay_alu instid0(VALU_DEP_3) | instskip(NEXT) | instid1(VALU_DEP_1)
	v_sub_co_ci_u32_e32 v5, vcc_lo, v6, v5, vcc_lo
                                        ; implicit-def: $vgpr6_vgpr7
	v_cmpx_ne_u64_e32 0, v[4:5]
	s_xor_b32 s20, exec_lo, s2
	s_cbranch_execz .LBB11_4
; %bb.3:
	v_cvt_f32_u32_e32 v4, s15
	s_sub_u32 s2, 0, s15
	s_subb_u32 s21, 0, 0
	s_delay_alu instid0(VALU_DEP_1) | instskip(NEXT) | instid1(VALU_DEP_1)
	v_fmamk_f32 v4, 0, 0x4f800000, v4
	v_rcp_f32_e32 v4, v4
	s_waitcnt_depctr 0xfff
	v_mul_f32_e32 v4, 0x5f7ffffc, v4
	s_delay_alu instid0(VALU_DEP_1) | instskip(NEXT) | instid1(VALU_DEP_1)
	v_mul_f32_e32 v6, 0x2f800000, v4
	v_trunc_f32_e32 v6, v6
	s_delay_alu instid0(VALU_DEP_1) | instskip(SKIP_1) | instid1(VALU_DEP_2)
	v_fmamk_f32 v4, v6, 0xcf800000, v4
	v_cvt_u32_f32_e32 v6, v6
	v_cvt_u32_f32_e32 v4, v4
	s_delay_alu instid0(VALU_DEP_2) | instskip(NEXT) | instid1(VALU_DEP_2)
	v_mul_lo_u32 v7, s2, v6
	v_mul_hi_u32 v10, s2, v4
	v_mul_lo_u32 v11, s21, v4
	s_delay_alu instid0(VALU_DEP_2) | instskip(SKIP_1) | instid1(VALU_DEP_2)
	v_add_nc_u32_e32 v7, v10, v7
	v_mul_lo_u32 v10, s2, v4
	v_add_nc_u32_e32 v7, v7, v11
	s_delay_alu instid0(VALU_DEP_2) | instskip(NEXT) | instid1(VALU_DEP_2)
	v_mul_hi_u32 v11, v4, v10
	v_mul_lo_u32 v12, v4, v7
	v_mul_hi_u32 v13, v4, v7
	v_mul_hi_u32 v14, v6, v10
	v_mul_lo_u32 v10, v6, v10
	v_mul_hi_u32 v15, v6, v7
	v_mul_lo_u32 v7, v6, v7
	v_add_co_u32 v11, vcc_lo, v11, v12
	v_add_co_ci_u32_e32 v12, vcc_lo, 0, v13, vcc_lo
	s_delay_alu instid0(VALU_DEP_2) | instskip(NEXT) | instid1(VALU_DEP_2)
	v_add_co_u32 v10, vcc_lo, v11, v10
	v_add_co_ci_u32_e32 v10, vcc_lo, v12, v14, vcc_lo
	v_add_co_ci_u32_e32 v11, vcc_lo, 0, v15, vcc_lo
	s_delay_alu instid0(VALU_DEP_2) | instskip(NEXT) | instid1(VALU_DEP_2)
	v_add_co_u32 v7, vcc_lo, v10, v7
	v_add_co_ci_u32_e32 v10, vcc_lo, 0, v11, vcc_lo
	s_delay_alu instid0(VALU_DEP_2) | instskip(NEXT) | instid1(VALU_DEP_2)
	v_add_co_u32 v4, vcc_lo, v4, v7
	v_add_co_ci_u32_e32 v6, vcc_lo, v6, v10, vcc_lo
	s_delay_alu instid0(VALU_DEP_2) | instskip(SKIP_1) | instid1(VALU_DEP_3)
	v_mul_hi_u32 v7, s2, v4
	v_mul_lo_u32 v11, s21, v4
	v_mul_lo_u32 v10, s2, v6
	s_delay_alu instid0(VALU_DEP_1) | instskip(SKIP_1) | instid1(VALU_DEP_2)
	v_add_nc_u32_e32 v7, v7, v10
	v_mul_lo_u32 v10, s2, v4
	v_add_nc_u32_e32 v7, v7, v11
	s_delay_alu instid0(VALU_DEP_2) | instskip(NEXT) | instid1(VALU_DEP_2)
	v_mul_hi_u32 v11, v4, v10
	v_mul_lo_u32 v12, v4, v7
	v_mul_hi_u32 v13, v4, v7
	v_mul_hi_u32 v14, v6, v10
	v_mul_lo_u32 v10, v6, v10
	v_mul_hi_u32 v15, v6, v7
	v_mul_lo_u32 v7, v6, v7
	v_add_co_u32 v11, vcc_lo, v11, v12
	v_add_co_ci_u32_e32 v12, vcc_lo, 0, v13, vcc_lo
	s_delay_alu instid0(VALU_DEP_2) | instskip(NEXT) | instid1(VALU_DEP_2)
	v_add_co_u32 v10, vcc_lo, v11, v10
	v_add_co_ci_u32_e32 v10, vcc_lo, v12, v14, vcc_lo
	v_add_co_ci_u32_e32 v11, vcc_lo, 0, v15, vcc_lo
	s_delay_alu instid0(VALU_DEP_2) | instskip(NEXT) | instid1(VALU_DEP_2)
	v_add_co_u32 v7, vcc_lo, v10, v7
	v_add_co_ci_u32_e32 v10, vcc_lo, 0, v11, vcc_lo
	s_delay_alu instid0(VALU_DEP_2) | instskip(NEXT) | instid1(VALU_DEP_2)
	v_add_co_u32 v4, vcc_lo, v4, v7
	v_add_co_ci_u32_e32 v14, vcc_lo, v6, v10, vcc_lo
	s_delay_alu instid0(VALU_DEP_2) | instskip(SKIP_1) | instid1(VALU_DEP_3)
	v_mul_hi_u32 v15, v9, v4
	v_mad_u64_u32 v[10:11], null, v5, v4, 0
	v_mad_u64_u32 v[6:7], null, v9, v14, 0
	;; [unrolled: 1-line block ×3, first 2 shown]
	s_delay_alu instid0(VALU_DEP_2) | instskip(NEXT) | instid1(VALU_DEP_3)
	v_add_co_u32 v4, vcc_lo, v15, v6
	v_add_co_ci_u32_e32 v6, vcc_lo, 0, v7, vcc_lo
	s_delay_alu instid0(VALU_DEP_2) | instskip(NEXT) | instid1(VALU_DEP_2)
	v_add_co_u32 v4, vcc_lo, v4, v10
	v_add_co_ci_u32_e32 v4, vcc_lo, v6, v11, vcc_lo
	v_add_co_ci_u32_e32 v6, vcc_lo, 0, v13, vcc_lo
	s_delay_alu instid0(VALU_DEP_2) | instskip(NEXT) | instid1(VALU_DEP_2)
	v_add_co_u32 v12, vcc_lo, v4, v12
	v_add_co_ci_u32_e32 v13, vcc_lo, 0, v6, vcc_lo
	s_delay_alu instid0(VALU_DEP_2) | instskip(NEXT) | instid1(VALU_DEP_1)
	v_mad_u64_u32 v[6:7], null, s15, v12, 0
	v_mov_b32_e32 v4, v7
	s_delay_alu instid0(VALU_DEP_1) | instskip(NEXT) | instid1(VALU_DEP_3)
	v_mad_u64_u32 v[10:11], null, s15, v13, v[4:5]
	v_sub_co_u32 v4, vcc_lo, v9, v6
	s_delay_alu instid0(VALU_DEP_2) | instskip(NEXT) | instid1(VALU_DEP_2)
	v_sub_co_ci_u32_e32 v5, vcc_lo, v5, v10, vcc_lo
	v_sub_co_u32 v6, vcc_lo, v4, s15
	s_delay_alu instid0(VALU_DEP_2) | instskip(NEXT) | instid1(VALU_DEP_2)
	v_subrev_co_ci_u32_e32 v7, vcc_lo, 0, v5, vcc_lo
	v_cmp_le_u32_e32 vcc_lo, s15, v6
	v_cmp_eq_u32_e64 s2, 0, v5
	v_cndmask_b32_e64 v6, 0, -1, vcc_lo
	v_add_co_u32 v9, vcc_lo, v12, 2
	v_add_co_ci_u32_e32 v10, vcc_lo, 0, v13, vcc_lo
	v_cmp_le_u32_e32 vcc_lo, s15, v4
	v_cndmask_b32_e64 v4, 0, -1, vcc_lo
	v_cmp_eq_u32_e32 vcc_lo, 0, v7
	s_delay_alu instid0(VALU_DEP_2) | instskip(SKIP_3) | instid1(VALU_DEP_3)
	v_cndmask_b32_e64 v4, -1, v4, s2
	v_cndmask_b32_e32 v6, -1, v6, vcc_lo
	v_add_co_u32 v7, vcc_lo, v12, 1
	v_add_co_ci_u32_e32 v11, vcc_lo, 0, v13, vcc_lo
	v_cmp_ne_u32_e32 vcc_lo, 0, v6
	s_delay_alu instid0(VALU_DEP_2) | instskip(NEXT) | instid1(VALU_DEP_4)
	v_cndmask_b32_e32 v5, v11, v10, vcc_lo
	v_cndmask_b32_e32 v6, v7, v9, vcc_lo
	v_cmp_ne_u32_e32 vcc_lo, 0, v4
                                        ; implicit-def: $vgpr9
	s_delay_alu instid0(VALU_DEP_2)
	v_dual_cndmask_b32 v7, v13, v5 :: v_dual_cndmask_b32 v6, v12, v6
.LBB11_4:
	s_and_not1_saveexec_b32 s2, s20
	s_cbranch_execz .LBB11_6
; %bb.5:
	v_cvt_f32_u32_e32 v4, s15
	s_sub_i32 s20, 0, s15
	s_delay_alu instid0(VALU_DEP_1) | instskip(SKIP_2) | instid1(VALU_DEP_1)
	v_rcp_iflag_f32_e32 v4, v4
	s_waitcnt_depctr 0xfff
	v_mul_f32_e32 v4, 0x4f7ffffe, v4
	v_cvt_u32_f32_e32 v4, v4
	s_delay_alu instid0(VALU_DEP_1) | instskip(NEXT) | instid1(VALU_DEP_1)
	v_mul_lo_u32 v5, s20, v4
	v_mul_hi_u32 v5, v4, v5
	s_delay_alu instid0(VALU_DEP_1) | instskip(NEXT) | instid1(VALU_DEP_1)
	v_add_nc_u32_e32 v4, v4, v5
	v_mul_hi_u32 v4, v9, v4
	s_delay_alu instid0(VALU_DEP_1) | instskip(SKIP_1) | instid1(VALU_DEP_2)
	v_mul_lo_u32 v5, v4, s15
	v_add_nc_u32_e32 v6, 1, v4
	v_sub_nc_u32_e32 v5, v9, v5
	s_delay_alu instid0(VALU_DEP_1) | instskip(SKIP_1) | instid1(VALU_DEP_2)
	v_subrev_nc_u32_e32 v7, s15, v5
	v_cmp_le_u32_e32 vcc_lo, s15, v5
	v_cndmask_b32_e32 v5, v5, v7, vcc_lo
	v_dual_mov_b32 v7, 0 :: v_dual_cndmask_b32 v4, v4, v6
	s_delay_alu instid0(VALU_DEP_2) | instskip(NEXT) | instid1(VALU_DEP_2)
	v_cmp_le_u32_e32 vcc_lo, s15, v5
	v_add_nc_u32_e32 v6, 1, v4
	s_delay_alu instid0(VALU_DEP_1)
	v_cndmask_b32_e32 v6, v4, v6, vcc_lo
.LBB11_6:
	s_or_b32 exec_lo, exec_lo, s2
	s_delay_alu instid0(VALU_DEP_1) | instskip(SKIP_2) | instid1(VALU_DEP_3)
	v_add_co_u32 v4, vcc_lo, v6, v8
	v_add_co_ci_u32_e32 v5, vcc_lo, 0, v7, vcc_lo
	v_cmp_eq_u16_e64 s2, s15, 1
	v_add_co_u32 v6, vcc_lo, v4, 1
	s_delay_alu instid0(VALU_DEP_3) | instskip(SKIP_3) | instid1(VALU_DEP_1)
	v_add_co_ci_u32_e32 v7, vcc_lo, 0, v5, vcc_lo
	s_mul_i32 s20, s12, s17
	s_mul_hi_u32 s21, s12, s16
	s_mul_i32 s28, s12, s16
	v_cmp_lt_u64_e32 vcc_lo, 15, v[6:7]
	s_add_i32 s29, s21, s20
	s_and_b32 s20, vcc_lo, s2
	s_mov_b32 s2, -1
	s_and_saveexec_b32 s25, s20
	s_cbranch_execz .LBB11_10
; %bb.7:
	s_lshl_b64 s[20:21], s[28:29], 1
	v_dual_mov_b32 v9, v7 :: v_dual_and_b32 v8, -16, v6
	s_add_u32 s2, s6, s20
	s_addc_u32 s22, s7, s21
	s_lshl_b64 s[20:21], s[10:11], 1
	s_delay_alu instid0(SALU_CYCLE_1)
	s_add_u32 s2, s2, s20
	s_addc_u32 s22, s22, s21
	s_lshl_b64 s[20:21], s[18:19], 1
	v_mov_b32_e32 v13, v9
	s_add_u32 s2, s2, s20
	s_mov_b32 s20, 0
	s_addc_u32 s30, s22, s21
	s_mov_b32 s21, s20
	s_mov_b32 s22, s20
	;; [unrolled: 1-line block ×3, first 2 shown]
	v_lshlrev_b32_e32 v2, 1, v0
	v_mov_b32_e32 v12, v8
	s_delay_alu instid0(VALU_DEP_2)
	v_add_co_u32 v10, s2, s2, v2
	v_dual_mov_b32 v2, s20 :: v_dual_mov_b32 v5, s23
	v_mov_b32_e32 v4, s22
	v_add_co_ci_u32_e64 v11, null, s30, 0, s2
	v_mov_b32_e32 v3, s21
	s_lshl_b32 s21, s15, 5
.LBB11_8:                               ; =>This Inner Loop Header: Depth=1
	v_add_co_u32 v12, vcc_lo, v12, -16
	v_add_co_ci_u32_e32 v13, vcc_lo, -1, v13, vcc_lo
	s_clause 0x1
	global_store_b128 v[10:11], v[2:5], off
	global_store_b128 v[10:11], v[2:5], off offset:16
	v_add_co_u32 v10, s2, v10, s21
	v_cmp_eq_u64_e32 vcc_lo, 0, v[12:13]
	v_add_co_ci_u32_e64 v11, s2, 0, v11, s2
	s_or_b32 s20, vcc_lo, s20
	s_delay_alu instid0(SALU_CYCLE_1)
	s_and_not1_b32 exec_lo, exec_lo, s20
	s_cbranch_execnz .LBB11_8
; %bb.9:
	s_or_b32 exec_lo, exec_lo, s20
	v_mad_u64_u32 v[2:3], null, v8, s15, v[0:1]
	v_cmp_ne_u64_e32 vcc_lo, v[6:7], v[8:9]
	s_or_not1_b32 s2, vcc_lo, exec_lo
	s_delay_alu instid0(VALU_DEP_2) | instskip(NEXT) | instid1(VALU_DEP_1)
	v_mov_b32_e32 v1, v3
	v_mad_u64_u32 v[3:4], null, v9, s15, v[1:2]
                                        ; kill: def $vgpr1 killed $sgpr0 killed $exec
.LBB11_10:
	s_or_b32 exec_lo, exec_lo, s25
	s_delay_alu instid0(SALU_CYCLE_1)
	s_and_b32 exec_lo, exec_lo, s2
	s_cbranch_execz .LBB11_13
; %bb.11:
	s_lshl_b64 s[20:21], s[18:19], 1
	s_lshl_b64 s[22:23], s[10:11], 1
	s_delay_alu instid0(VALU_DEP_1)
	v_lshlrev_b64 v[4:5], 1, v[2:3]
	s_add_u32 s2, s20, s22
	s_addc_u32 s22, s21, s23
	s_lshl_b64 s[20:21], s[28:29], 1
	v_mov_b32_e32 v1, 0
	s_add_u32 s2, s2, s20
	s_addc_u32 s20, s22, s21
	s_add_u32 s2, s6, s2
	s_addc_u32 s20, s7, s20
	v_add_co_u32 v4, vcc_lo, s2, v4
	v_add_co_ci_u32_e32 v5, vcc_lo, s20, v5, vcc_lo
	s_lshl_b32 s20, s15, 1
	s_mov_b32 s21, 0
.LBB11_12:                              ; =>This Inner Loop Header: Depth=1
	v_add_co_u32 v2, vcc_lo, v2, s15
	v_add_co_ci_u32_e32 v3, vcc_lo, 0, v3, vcc_lo
	global_store_b16 v[4:5], v1, off
	v_add_co_u32 v4, s2, v4, s20
	v_cmp_lt_u64_e32 vcc_lo, s[12:13], v[2:3]
	v_add_co_ci_u32_e64 v5, s2, 0, v5, s2
	s_or_b32 s21, vcc_lo, s21
	s_delay_alu instid0(SALU_CYCLE_1)
	s_and_not1_b32 exec_lo, exec_lo, s21
	s_cbranch_execnz .LBB11_12
.LBB11_13:
	s_or_b32 exec_lo, exec_lo, s3
	v_add_co_u32 v1, s2, s26, v0
	s_delay_alu instid0(VALU_DEP_1) | instskip(SKIP_1) | instid1(VALU_DEP_1)
	v_add_co_ci_u32_e64 v2, null, s27, 0, s2
	s_mov_b32 s2, exec_lo
	v_cmpx_gt_i64_e64 s[8:9], v[1:2]
	s_cbranch_execz .LBB11_16
; %bb.14:
	s_clause 0x2
	s_load_b128 s[20:23], s[0:1], 0x38
	s_load_b64 s[2:3], s[0:1], 0x48
	s_load_b32 s0, s[0:1], 0x7c
	s_waitcnt lgkmcnt(0)
	s_mul_i32 s13, s14, s23
	s_mul_hi_u32 s15, s14, s22
	s_mul_i32 s14, s14, s22
	s_mul_i32 s3, s24, s3
	s_mul_hi_u32 s22, s24, s2
	s_and_b32 s1, s0, 0xffff
	s_add_i32 s15, s15, s13
	s_add_i32 s22, s22, s3
	s_add_u32 s0, s18, s10
	s_addc_u32 s3, s19, s11
	s_add_u32 s10, s16, 1
	s_addc_u32 s11, s17, 0
	s_mul_hi_u32 s13, s10, s12
	s_mul_i32 s11, s11, s12
	s_mul_i32 s10, s10, s12
	s_add_i32 s13, s13, s11
	s_add_u32 s0, s0, s10
	s_mul_i32 s2, s24, s2
	s_addc_u32 s3, s3, s13
	s_lshl_b32 s10, s1, 1
	v_add_co_u32 v3, s0, s0, v0
	s_add_u32 s2, s2, s14
	v_add_co_ci_u32_e64 v4, null, s3, 0, s0
	s_addc_u32 s0, s22, s15
	s_add_u32 s3, s20, 1
	s_addc_u32 s11, s21, 0
	s_mul_hi_u32 s13, s3, s12
	s_mul_i32 s11, s11, s12
	s_mul_i32 s3, s3, s12
	s_add_i32 s13, s13, s11
	s_add_u32 s2, s2, s3
	s_addc_u32 s0, s0, s13
	v_add_co_u32 v5, s2, s2, v0
	s_delay_alu instid0(VALU_DEP_1) | instskip(SKIP_2) | instid1(VALU_DEP_2)
	v_add_co_ci_u32_e64 v6, null, s0, 0, s2
	v_lshlrev_b64 v[3:4], 1, v[3:4]
	s_mov_b64 s[2:3], 2
	v_lshlrev_b64 v[5:6], 1, v[5:6]
	s_delay_alu instid0(VALU_DEP_2) | instskip(NEXT) | instid1(VALU_DEP_3)
	v_add_co_u32 v0, vcc_lo, s6, v3
	v_add_co_ci_u32_e32 v3, vcc_lo, s7, v4, vcc_lo
	s_delay_alu instid0(VALU_DEP_3) | instskip(NEXT) | instid1(VALU_DEP_4)
	v_add_co_u32 v4, vcc_lo, s4, v5
	v_add_co_ci_u32_e32 v5, vcc_lo, s5, v6, vcc_lo
	s_mov_b32 s4, 0
	.p2align	6
.LBB11_15:                              ; =>This Inner Loop Header: Depth=1
	s_delay_alu instid0(VALU_DEP_2) | instskip(NEXT) | instid1(VALU_DEP_2)
	v_add_co_u32 v6, vcc_lo, v4, s2
	v_add_co_ci_u32_e32 v7, vcc_lo, s3, v5, vcc_lo
	v_add_co_u32 v1, vcc_lo, v1, s1
	v_add_co_ci_u32_e32 v2, vcc_lo, 0, v2, vcc_lo
	global_load_u16 v8, v[6:7], off
	v_add_co_u32 v6, s0, v0, s2
	v_cmp_le_i64_e32 vcc_lo, s[8:9], v[1:2]
	v_add_co_ci_u32_e64 v7, s0, s3, v3, s0
	s_add_u32 s2, s2, s10
	s_addc_u32 s3, s3, 0
	s_or_b32 s4, vcc_lo, s4
	s_waitcnt vmcnt(0)
	global_store_b16 v[6:7], v8, off
	s_and_not1_b32 exec_lo, exec_lo, s4
	s_cbranch_execnz .LBB11_15
.LBB11_16:
	s_nop 0
	s_sendmsg sendmsg(MSG_DEALLOC_VGPRS)
	s_endpgm
	.section	.rodata,"a",@progbits
	.p2align	6, 0x0
	.amdhsa_kernel _ZL10tri_kernelI14__hip_bfloat16Lb0ELi1EEvPKT_PS1_llllllllllll
		.amdhsa_group_segment_fixed_size 0
		.amdhsa_private_segment_fixed_size 0
		.amdhsa_kernarg_size 368
		.amdhsa_user_sgpr_count 13
		.amdhsa_user_sgpr_dispatch_ptr 0
		.amdhsa_user_sgpr_queue_ptr 0
		.amdhsa_user_sgpr_kernarg_segment_ptr 1
		.amdhsa_user_sgpr_dispatch_id 0
		.amdhsa_user_sgpr_private_segment_size 0
		.amdhsa_wavefront_size32 1
		.amdhsa_uses_dynamic_stack 0
		.amdhsa_enable_private_segment 0
		.amdhsa_system_sgpr_workgroup_id_x 1
		.amdhsa_system_sgpr_workgroup_id_y 1
		.amdhsa_system_sgpr_workgroup_id_z 1
		.amdhsa_system_sgpr_workgroup_info 0
		.amdhsa_system_vgpr_workitem_id 0
		.amdhsa_next_free_vgpr 16
		.amdhsa_next_free_sgpr 31
		.amdhsa_reserve_vcc 1
		.amdhsa_float_round_mode_32 0
		.amdhsa_float_round_mode_16_64 0
		.amdhsa_float_denorm_mode_32 3
		.amdhsa_float_denorm_mode_16_64 3
		.amdhsa_dx10_clamp 1
		.amdhsa_ieee_mode 1
		.amdhsa_fp16_overflow 0
		.amdhsa_workgroup_processor_mode 1
		.amdhsa_memory_ordered 1
		.amdhsa_forward_progress 0
		.amdhsa_shared_vgpr_count 0
		.amdhsa_exception_fp_ieee_invalid_op 0
		.amdhsa_exception_fp_denorm_src 0
		.amdhsa_exception_fp_ieee_div_zero 0
		.amdhsa_exception_fp_ieee_overflow 0
		.amdhsa_exception_fp_ieee_underflow 0
		.amdhsa_exception_fp_ieee_inexact 0
		.amdhsa_exception_int_div_zero 0
	.end_amdhsa_kernel
	.section	.text._ZL10tri_kernelI14__hip_bfloat16Lb0ELi1EEvPKT_PS1_llllllllllll,"axG",@progbits,_ZL10tri_kernelI14__hip_bfloat16Lb0ELi1EEvPKT_PS1_llllllllllll,comdat
.Lfunc_end11:
	.size	_ZL10tri_kernelI14__hip_bfloat16Lb0ELi1EEvPKT_PS1_llllllllllll, .Lfunc_end11-_ZL10tri_kernelI14__hip_bfloat16Lb0ELi1EEvPKT_PS1_llllllllllll
                                        ; -- End function
	.section	.AMDGPU.csdata,"",@progbits
; Kernel info:
; codeLenInByte = 1964
; NumSgprs: 33
; NumVgprs: 16
; ScratchSize: 0
; MemoryBound: 0
; FloatMode: 240
; IeeeMode: 1
; LDSByteSize: 0 bytes/workgroup (compile time only)
; SGPRBlocks: 4
; VGPRBlocks: 1
; NumSGPRsForWavesPerEU: 33
; NumVGPRsForWavesPerEU: 16
; Occupancy: 16
; WaveLimiterHint : 0
; COMPUTE_PGM_RSRC2:SCRATCH_EN: 0
; COMPUTE_PGM_RSRC2:USER_SGPR: 13
; COMPUTE_PGM_RSRC2:TRAP_HANDLER: 0
; COMPUTE_PGM_RSRC2:TGID_X_EN: 1
; COMPUTE_PGM_RSRC2:TGID_Y_EN: 1
; COMPUTE_PGM_RSRC2:TGID_Z_EN: 1
; COMPUTE_PGM_RSRC2:TIDIG_COMP_CNT: 0
	.text
	.p2alignl 7, 3214868480
	.fill 96, 4, 3214868480
	.type	__hip_cuid_7e3b9601c1d31fc1,@object ; @__hip_cuid_7e3b9601c1d31fc1
	.section	.bss,"aw",@nobits
	.globl	__hip_cuid_7e3b9601c1d31fc1
__hip_cuid_7e3b9601c1d31fc1:
	.byte	0                               ; 0x0
	.size	__hip_cuid_7e3b9601c1d31fc1, 1

	.ident	"AMD clang version 19.0.0git (https://github.com/RadeonOpenCompute/llvm-project roc-6.4.0 25133 c7fe45cf4b819c5991fe208aaa96edf142730f1d)"
	.section	".note.GNU-stack","",@progbits
	.addrsig
	.addrsig_sym __hip_cuid_7e3b9601c1d31fc1
	.amdgpu_metadata
---
amdhsa.kernels:
  - .args:
      - .address_space:  global
        .offset:         0
        .size:           8
        .value_kind:     global_buffer
      - .address_space:  global
        .offset:         8
        .size:           8
        .value_kind:     global_buffer
      - .offset:         16
        .size:           8
        .value_kind:     by_value
      - .offset:         24
        .size:           8
        .value_kind:     by_value
      - .offset:         32
        .size:           8
        .value_kind:     by_value
      - .offset:         40
        .size:           8
        .value_kind:     by_value
      - .offset:         48
        .size:           8
        .value_kind:     by_value
      - .offset:         56
        .size:           8
        .value_kind:     by_value
      - .offset:         64
        .size:           8
        .value_kind:     by_value
      - .offset:         72
        .size:           8
        .value_kind:     by_value
      - .offset:         80
        .size:           8
        .value_kind:     by_value
      - .offset:         88
        .size:           8
        .value_kind:     by_value
      - .offset:         96
        .size:           8
        .value_kind:     by_value
      - .offset:         104
        .size:           8
        .value_kind:     by_value
      - .offset:         112
        .size:           4
        .value_kind:     hidden_block_count_x
      - .offset:         116
        .size:           4
        .value_kind:     hidden_block_count_y
      - .offset:         120
        .size:           4
        .value_kind:     hidden_block_count_z
      - .offset:         124
        .size:           2
        .value_kind:     hidden_group_size_x
      - .offset:         126
        .size:           2
        .value_kind:     hidden_group_size_y
      - .offset:         128
        .size:           2
        .value_kind:     hidden_group_size_z
      - .offset:         130
        .size:           2
        .value_kind:     hidden_remainder_x
      - .offset:         132
        .size:           2
        .value_kind:     hidden_remainder_y
      - .offset:         134
        .size:           2
        .value_kind:     hidden_remainder_z
      - .offset:         152
        .size:           8
        .value_kind:     hidden_global_offset_x
      - .offset:         160
        .size:           8
        .value_kind:     hidden_global_offset_y
      - .offset:         168
        .size:           8
        .value_kind:     hidden_global_offset_z
      - .offset:         176
        .size:           2
        .value_kind:     hidden_grid_dims
    .group_segment_fixed_size: 0
    .kernarg_segment_align: 8
    .kernarg_segment_size: 368
    .language:       OpenCL C
    .language_version:
      - 2
      - 0
    .max_flat_workgroup_size: 1024
    .name:           _ZL10tri_kernelIfLb1ELi0EEvPKT_PS0_llllllllllll
    .private_segment_fixed_size: 0
    .sgpr_count:     40
    .sgpr_spill_count: 0
    .symbol:         _ZL10tri_kernelIfLb1ELi0EEvPKT_PS0_llllllllllll.kd
    .uniform_work_group_size: 1
    .uses_dynamic_stack: false
    .vgpr_count:     10
    .vgpr_spill_count: 0
    .wavefront_size: 32
    .workgroup_processor_mode: 1
  - .args:
      - .address_space:  global
        .offset:         0
        .size:           8
        .value_kind:     global_buffer
      - .address_space:  global
        .offset:         8
        .size:           8
        .value_kind:     global_buffer
      - .offset:         16
        .size:           8
        .value_kind:     by_value
      - .offset:         24
        .size:           8
        .value_kind:     by_value
      - .offset:         32
        .size:           8
        .value_kind:     by_value
      - .offset:         40
        .size:           8
        .value_kind:     by_value
      - .offset:         48
        .size:           8
        .value_kind:     by_value
      - .offset:         56
        .size:           8
        .value_kind:     by_value
      - .offset:         64
        .size:           8
        .value_kind:     by_value
      - .offset:         72
        .size:           8
        .value_kind:     by_value
      - .offset:         80
        .size:           8
        .value_kind:     by_value
      - .offset:         88
        .size:           8
        .value_kind:     by_value
      - .offset:         96
        .size:           8
        .value_kind:     by_value
      - .offset:         104
        .size:           8
        .value_kind:     by_value
      - .offset:         112
        .size:           4
        .value_kind:     hidden_block_count_x
      - .offset:         116
        .size:           4
        .value_kind:     hidden_block_count_y
      - .offset:         120
        .size:           4
        .value_kind:     hidden_block_count_z
      - .offset:         124
        .size:           2
        .value_kind:     hidden_group_size_x
      - .offset:         126
        .size:           2
        .value_kind:     hidden_group_size_y
      - .offset:         128
        .size:           2
        .value_kind:     hidden_group_size_z
      - .offset:         130
        .size:           2
        .value_kind:     hidden_remainder_x
      - .offset:         132
        .size:           2
        .value_kind:     hidden_remainder_y
      - .offset:         134
        .size:           2
        .value_kind:     hidden_remainder_z
      - .offset:         152
        .size:           8
        .value_kind:     hidden_global_offset_x
      - .offset:         160
        .size:           8
        .value_kind:     hidden_global_offset_y
      - .offset:         168
        .size:           8
        .value_kind:     hidden_global_offset_z
      - .offset:         176
        .size:           2
        .value_kind:     hidden_grid_dims
    .group_segment_fixed_size: 0
    .kernarg_segment_align: 8
    .kernarg_segment_size: 368
    .language:       OpenCL C
    .language_version:
      - 2
      - 0
    .max_flat_workgroup_size: 1024
    .name:           _ZL10tri_kernelIfLb1ELi1EEvPKT_PS0_llllllllllll
    .private_segment_fixed_size: 0
    .sgpr_count:     37
    .sgpr_spill_count: 0
    .symbol:         _ZL10tri_kernelIfLb1ELi1EEvPKT_PS0_llllllllllll.kd
    .uniform_work_group_size: 1
    .uses_dynamic_stack: false
    .vgpr_count:     10
    .vgpr_spill_count: 0
    .wavefront_size: 32
    .workgroup_processor_mode: 1
  - .args:
      - .address_space:  global
        .offset:         0
        .size:           8
        .value_kind:     global_buffer
      - .address_space:  global
        .offset:         8
        .size:           8
        .value_kind:     global_buffer
      - .offset:         16
        .size:           8
        .value_kind:     by_value
      - .offset:         24
        .size:           8
        .value_kind:     by_value
      - .offset:         32
        .size:           8
        .value_kind:     by_value
      - .offset:         40
        .size:           8
        .value_kind:     by_value
      - .offset:         48
        .size:           8
        .value_kind:     by_value
      - .offset:         56
        .size:           8
        .value_kind:     by_value
      - .offset:         64
        .size:           8
        .value_kind:     by_value
      - .offset:         72
        .size:           8
        .value_kind:     by_value
      - .offset:         80
        .size:           8
        .value_kind:     by_value
      - .offset:         88
        .size:           8
        .value_kind:     by_value
      - .offset:         96
        .size:           8
        .value_kind:     by_value
      - .offset:         104
        .size:           8
        .value_kind:     by_value
      - .offset:         112
        .size:           4
        .value_kind:     hidden_block_count_x
      - .offset:         116
        .size:           4
        .value_kind:     hidden_block_count_y
      - .offset:         120
        .size:           4
        .value_kind:     hidden_block_count_z
      - .offset:         124
        .size:           2
        .value_kind:     hidden_group_size_x
      - .offset:         126
        .size:           2
        .value_kind:     hidden_group_size_y
      - .offset:         128
        .size:           2
        .value_kind:     hidden_group_size_z
      - .offset:         130
        .size:           2
        .value_kind:     hidden_remainder_x
      - .offset:         132
        .size:           2
        .value_kind:     hidden_remainder_y
      - .offset:         134
        .size:           2
        .value_kind:     hidden_remainder_z
      - .offset:         152
        .size:           8
        .value_kind:     hidden_global_offset_x
      - .offset:         160
        .size:           8
        .value_kind:     hidden_global_offset_y
      - .offset:         168
        .size:           8
        .value_kind:     hidden_global_offset_z
      - .offset:         176
        .size:           2
        .value_kind:     hidden_grid_dims
    .group_segment_fixed_size: 0
    .kernarg_segment_align: 8
    .kernarg_segment_size: 368
    .language:       OpenCL C
    .language_version:
      - 2
      - 0
    .max_flat_workgroup_size: 1024
    .name:           _ZL10tri_kernelIfLb0ELi0EEvPKT_PS0_llllllllllll
    .private_segment_fixed_size: 0
    .sgpr_count:     33
    .sgpr_spill_count: 0
    .symbol:         _ZL10tri_kernelIfLb0ELi0EEvPKT_PS0_llllllllllll.kd
    .uniform_work_group_size: 1
    .uses_dynamic_stack: false
    .vgpr_count:     9
    .vgpr_spill_count: 0
    .wavefront_size: 32
    .workgroup_processor_mode: 1
  - .args:
      - .address_space:  global
        .offset:         0
        .size:           8
        .value_kind:     global_buffer
      - .address_space:  global
        .offset:         8
        .size:           8
        .value_kind:     global_buffer
      - .offset:         16
        .size:           8
        .value_kind:     by_value
      - .offset:         24
        .size:           8
        .value_kind:     by_value
      - .offset:         32
        .size:           8
        .value_kind:     by_value
      - .offset:         40
        .size:           8
        .value_kind:     by_value
      - .offset:         48
        .size:           8
        .value_kind:     by_value
      - .offset:         56
        .size:           8
        .value_kind:     by_value
      - .offset:         64
        .size:           8
        .value_kind:     by_value
      - .offset:         72
        .size:           8
        .value_kind:     by_value
      - .offset:         80
        .size:           8
        .value_kind:     by_value
      - .offset:         88
        .size:           8
        .value_kind:     by_value
      - .offset:         96
        .size:           8
        .value_kind:     by_value
      - .offset:         104
        .size:           8
        .value_kind:     by_value
      - .offset:         112
        .size:           4
        .value_kind:     hidden_block_count_x
      - .offset:         116
        .size:           4
        .value_kind:     hidden_block_count_y
      - .offset:         120
        .size:           4
        .value_kind:     hidden_block_count_z
      - .offset:         124
        .size:           2
        .value_kind:     hidden_group_size_x
      - .offset:         126
        .size:           2
        .value_kind:     hidden_group_size_y
      - .offset:         128
        .size:           2
        .value_kind:     hidden_group_size_z
      - .offset:         130
        .size:           2
        .value_kind:     hidden_remainder_x
      - .offset:         132
        .size:           2
        .value_kind:     hidden_remainder_y
      - .offset:         134
        .size:           2
        .value_kind:     hidden_remainder_z
      - .offset:         152
        .size:           8
        .value_kind:     hidden_global_offset_x
      - .offset:         160
        .size:           8
        .value_kind:     hidden_global_offset_y
      - .offset:         168
        .size:           8
        .value_kind:     hidden_global_offset_z
      - .offset:         176
        .size:           2
        .value_kind:     hidden_grid_dims
    .group_segment_fixed_size: 0
    .kernarg_segment_align: 8
    .kernarg_segment_size: 368
    .language:       OpenCL C
    .language_version:
      - 2
      - 0
    .max_flat_workgroup_size: 1024
    .name:           _ZL10tri_kernelIfLb0ELi1EEvPKT_PS0_llllllllllll
    .private_segment_fixed_size: 0
    .sgpr_count:     30
    .sgpr_spill_count: 0
    .symbol:         _ZL10tri_kernelIfLb0ELi1EEvPKT_PS0_llllllllllll.kd
    .uniform_work_group_size: 1
    .uses_dynamic_stack: false
    .vgpr_count:     9
    .vgpr_spill_count: 0
    .wavefront_size: 32
    .workgroup_processor_mode: 1
  - .args:
      - .address_space:  global
        .offset:         0
        .size:           8
        .value_kind:     global_buffer
      - .address_space:  global
        .offset:         8
        .size:           8
        .value_kind:     global_buffer
      - .offset:         16
        .size:           8
        .value_kind:     by_value
      - .offset:         24
        .size:           8
        .value_kind:     by_value
      - .offset:         32
        .size:           8
        .value_kind:     by_value
      - .offset:         40
        .size:           8
        .value_kind:     by_value
      - .offset:         48
        .size:           8
        .value_kind:     by_value
      - .offset:         56
        .size:           8
        .value_kind:     by_value
      - .offset:         64
        .size:           8
        .value_kind:     by_value
      - .offset:         72
        .size:           8
        .value_kind:     by_value
      - .offset:         80
        .size:           8
        .value_kind:     by_value
      - .offset:         88
        .size:           8
        .value_kind:     by_value
      - .offset:         96
        .size:           8
        .value_kind:     by_value
      - .offset:         104
        .size:           8
        .value_kind:     by_value
      - .offset:         112
        .size:           4
        .value_kind:     hidden_block_count_x
      - .offset:         116
        .size:           4
        .value_kind:     hidden_block_count_y
      - .offset:         120
        .size:           4
        .value_kind:     hidden_block_count_z
      - .offset:         124
        .size:           2
        .value_kind:     hidden_group_size_x
      - .offset:         126
        .size:           2
        .value_kind:     hidden_group_size_y
      - .offset:         128
        .size:           2
        .value_kind:     hidden_group_size_z
      - .offset:         130
        .size:           2
        .value_kind:     hidden_remainder_x
      - .offset:         132
        .size:           2
        .value_kind:     hidden_remainder_y
      - .offset:         134
        .size:           2
        .value_kind:     hidden_remainder_z
      - .offset:         152
        .size:           8
        .value_kind:     hidden_global_offset_x
      - .offset:         160
        .size:           8
        .value_kind:     hidden_global_offset_y
      - .offset:         168
        .size:           8
        .value_kind:     hidden_global_offset_z
      - .offset:         176
        .size:           2
        .value_kind:     hidden_grid_dims
    .group_segment_fixed_size: 0
    .kernarg_segment_align: 8
    .kernarg_segment_size: 368
    .language:       OpenCL C
    .language_version:
      - 2
      - 0
    .max_flat_workgroup_size: 1024
    .name:           _ZL10tri_kernelI6__halfLb1ELi0EEvPKT_PS1_llllllllllll
    .private_segment_fixed_size: 0
    .sgpr_count:     34
    .sgpr_spill_count: 0
    .symbol:         _ZL10tri_kernelI6__halfLb1ELi0EEvPKT_PS1_llllllllllll.kd
    .uniform_work_group_size: 1
    .uses_dynamic_stack: false
    .vgpr_count:     14
    .vgpr_spill_count: 0
    .wavefront_size: 32
    .workgroup_processor_mode: 1
  - .args:
      - .address_space:  global
        .offset:         0
        .size:           8
        .value_kind:     global_buffer
      - .address_space:  global
        .offset:         8
        .size:           8
        .value_kind:     global_buffer
      - .offset:         16
        .size:           8
        .value_kind:     by_value
      - .offset:         24
        .size:           8
        .value_kind:     by_value
      - .offset:         32
        .size:           8
        .value_kind:     by_value
      - .offset:         40
        .size:           8
        .value_kind:     by_value
      - .offset:         48
        .size:           8
        .value_kind:     by_value
      - .offset:         56
        .size:           8
        .value_kind:     by_value
      - .offset:         64
        .size:           8
        .value_kind:     by_value
      - .offset:         72
        .size:           8
        .value_kind:     by_value
      - .offset:         80
        .size:           8
        .value_kind:     by_value
      - .offset:         88
        .size:           8
        .value_kind:     by_value
      - .offset:         96
        .size:           8
        .value_kind:     by_value
      - .offset:         104
        .size:           8
        .value_kind:     by_value
      - .offset:         112
        .size:           4
        .value_kind:     hidden_block_count_x
      - .offset:         116
        .size:           4
        .value_kind:     hidden_block_count_y
      - .offset:         120
        .size:           4
        .value_kind:     hidden_block_count_z
      - .offset:         124
        .size:           2
        .value_kind:     hidden_group_size_x
      - .offset:         126
        .size:           2
        .value_kind:     hidden_group_size_y
      - .offset:         128
        .size:           2
        .value_kind:     hidden_group_size_z
      - .offset:         130
        .size:           2
        .value_kind:     hidden_remainder_x
      - .offset:         132
        .size:           2
        .value_kind:     hidden_remainder_y
      - .offset:         134
        .size:           2
        .value_kind:     hidden_remainder_z
      - .offset:         152
        .size:           8
        .value_kind:     hidden_global_offset_x
      - .offset:         160
        .size:           8
        .value_kind:     hidden_global_offset_y
      - .offset:         168
        .size:           8
        .value_kind:     hidden_global_offset_z
      - .offset:         176
        .size:           2
        .value_kind:     hidden_grid_dims
    .group_segment_fixed_size: 0
    .kernarg_segment_align: 8
    .kernarg_segment_size: 368
    .language:       OpenCL C
    .language_version:
      - 2
      - 0
    .max_flat_workgroup_size: 1024
    .name:           _ZL10tri_kernelI6__halfLb1ELi1EEvPKT_PS1_llllllllllll
    .private_segment_fixed_size: 0
    .sgpr_count:     34
    .sgpr_spill_count: 0
    .symbol:         _ZL10tri_kernelI6__halfLb1ELi1EEvPKT_PS1_llllllllllll.kd
    .uniform_work_group_size: 1
    .uses_dynamic_stack: false
    .vgpr_count:     16
    .vgpr_spill_count: 0
    .wavefront_size: 32
    .workgroup_processor_mode: 1
  - .args:
      - .address_space:  global
        .offset:         0
        .size:           8
        .value_kind:     global_buffer
      - .address_space:  global
        .offset:         8
        .size:           8
        .value_kind:     global_buffer
      - .offset:         16
        .size:           8
        .value_kind:     by_value
      - .offset:         24
        .size:           8
        .value_kind:     by_value
      - .offset:         32
        .size:           8
        .value_kind:     by_value
      - .offset:         40
        .size:           8
        .value_kind:     by_value
      - .offset:         48
        .size:           8
        .value_kind:     by_value
      - .offset:         56
        .size:           8
        .value_kind:     by_value
      - .offset:         64
        .size:           8
        .value_kind:     by_value
      - .offset:         72
        .size:           8
        .value_kind:     by_value
      - .offset:         80
        .size:           8
        .value_kind:     by_value
      - .offset:         88
        .size:           8
        .value_kind:     by_value
      - .offset:         96
        .size:           8
        .value_kind:     by_value
      - .offset:         104
        .size:           8
        .value_kind:     by_value
      - .offset:         112
        .size:           4
        .value_kind:     hidden_block_count_x
      - .offset:         116
        .size:           4
        .value_kind:     hidden_block_count_y
      - .offset:         120
        .size:           4
        .value_kind:     hidden_block_count_z
      - .offset:         124
        .size:           2
        .value_kind:     hidden_group_size_x
      - .offset:         126
        .size:           2
        .value_kind:     hidden_group_size_y
      - .offset:         128
        .size:           2
        .value_kind:     hidden_group_size_z
      - .offset:         130
        .size:           2
        .value_kind:     hidden_remainder_x
      - .offset:         132
        .size:           2
        .value_kind:     hidden_remainder_y
      - .offset:         134
        .size:           2
        .value_kind:     hidden_remainder_z
      - .offset:         152
        .size:           8
        .value_kind:     hidden_global_offset_x
      - .offset:         160
        .size:           8
        .value_kind:     hidden_global_offset_y
      - .offset:         168
        .size:           8
        .value_kind:     hidden_global_offset_z
      - .offset:         176
        .size:           2
        .value_kind:     hidden_grid_dims
    .group_segment_fixed_size: 0
    .kernarg_segment_align: 8
    .kernarg_segment_size: 368
    .language:       OpenCL C
    .language_version:
      - 2
      - 0
    .max_flat_workgroup_size: 1024
    .name:           _ZL10tri_kernelI6__halfLb0ELi0EEvPKT_PS1_llllllllllll
    .private_segment_fixed_size: 0
    .sgpr_count:     31
    .sgpr_spill_count: 0
    .symbol:         _ZL10tri_kernelI6__halfLb0ELi0EEvPKT_PS1_llllllllllll.kd
    .uniform_work_group_size: 1
    .uses_dynamic_stack: false
    .vgpr_count:     16
    .vgpr_spill_count: 0
    .wavefront_size: 32
    .workgroup_processor_mode: 1
  - .args:
      - .address_space:  global
        .offset:         0
        .size:           8
        .value_kind:     global_buffer
      - .address_space:  global
        .offset:         8
        .size:           8
        .value_kind:     global_buffer
      - .offset:         16
        .size:           8
        .value_kind:     by_value
      - .offset:         24
        .size:           8
        .value_kind:     by_value
      - .offset:         32
        .size:           8
        .value_kind:     by_value
      - .offset:         40
        .size:           8
        .value_kind:     by_value
      - .offset:         48
        .size:           8
        .value_kind:     by_value
      - .offset:         56
        .size:           8
        .value_kind:     by_value
      - .offset:         64
        .size:           8
        .value_kind:     by_value
      - .offset:         72
        .size:           8
        .value_kind:     by_value
      - .offset:         80
        .size:           8
        .value_kind:     by_value
      - .offset:         88
        .size:           8
        .value_kind:     by_value
      - .offset:         96
        .size:           8
        .value_kind:     by_value
      - .offset:         104
        .size:           8
        .value_kind:     by_value
      - .offset:         112
        .size:           4
        .value_kind:     hidden_block_count_x
      - .offset:         116
        .size:           4
        .value_kind:     hidden_block_count_y
      - .offset:         120
        .size:           4
        .value_kind:     hidden_block_count_z
      - .offset:         124
        .size:           2
        .value_kind:     hidden_group_size_x
      - .offset:         126
        .size:           2
        .value_kind:     hidden_group_size_y
      - .offset:         128
        .size:           2
        .value_kind:     hidden_group_size_z
      - .offset:         130
        .size:           2
        .value_kind:     hidden_remainder_x
      - .offset:         132
        .size:           2
        .value_kind:     hidden_remainder_y
      - .offset:         134
        .size:           2
        .value_kind:     hidden_remainder_z
      - .offset:         152
        .size:           8
        .value_kind:     hidden_global_offset_x
      - .offset:         160
        .size:           8
        .value_kind:     hidden_global_offset_y
      - .offset:         168
        .size:           8
        .value_kind:     hidden_global_offset_z
      - .offset:         176
        .size:           2
        .value_kind:     hidden_grid_dims
    .group_segment_fixed_size: 0
    .kernarg_segment_align: 8
    .kernarg_segment_size: 368
    .language:       OpenCL C
    .language_version:
      - 2
      - 0
    .max_flat_workgroup_size: 1024
    .name:           _ZL10tri_kernelI6__halfLb0ELi1EEvPKT_PS1_llllllllllll
    .private_segment_fixed_size: 0
    .sgpr_count:     33
    .sgpr_spill_count: 0
    .symbol:         _ZL10tri_kernelI6__halfLb0ELi1EEvPKT_PS1_llllllllllll.kd
    .uniform_work_group_size: 1
    .uses_dynamic_stack: false
    .vgpr_count:     16
    .vgpr_spill_count: 0
    .wavefront_size: 32
    .workgroup_processor_mode: 1
  - .args:
      - .address_space:  global
        .offset:         0
        .size:           8
        .value_kind:     global_buffer
      - .address_space:  global
        .offset:         8
        .size:           8
        .value_kind:     global_buffer
      - .offset:         16
        .size:           8
        .value_kind:     by_value
      - .offset:         24
        .size:           8
        .value_kind:     by_value
      - .offset:         32
        .size:           8
        .value_kind:     by_value
      - .offset:         40
        .size:           8
        .value_kind:     by_value
      - .offset:         48
        .size:           8
        .value_kind:     by_value
      - .offset:         56
        .size:           8
        .value_kind:     by_value
      - .offset:         64
        .size:           8
        .value_kind:     by_value
      - .offset:         72
        .size:           8
        .value_kind:     by_value
      - .offset:         80
        .size:           8
        .value_kind:     by_value
      - .offset:         88
        .size:           8
        .value_kind:     by_value
      - .offset:         96
        .size:           8
        .value_kind:     by_value
      - .offset:         104
        .size:           8
        .value_kind:     by_value
      - .offset:         112
        .size:           4
        .value_kind:     hidden_block_count_x
      - .offset:         116
        .size:           4
        .value_kind:     hidden_block_count_y
      - .offset:         120
        .size:           4
        .value_kind:     hidden_block_count_z
      - .offset:         124
        .size:           2
        .value_kind:     hidden_group_size_x
      - .offset:         126
        .size:           2
        .value_kind:     hidden_group_size_y
      - .offset:         128
        .size:           2
        .value_kind:     hidden_group_size_z
      - .offset:         130
        .size:           2
        .value_kind:     hidden_remainder_x
      - .offset:         132
        .size:           2
        .value_kind:     hidden_remainder_y
      - .offset:         134
        .size:           2
        .value_kind:     hidden_remainder_z
      - .offset:         152
        .size:           8
        .value_kind:     hidden_global_offset_x
      - .offset:         160
        .size:           8
        .value_kind:     hidden_global_offset_y
      - .offset:         168
        .size:           8
        .value_kind:     hidden_global_offset_z
      - .offset:         176
        .size:           2
        .value_kind:     hidden_grid_dims
    .group_segment_fixed_size: 0
    .kernarg_segment_align: 8
    .kernarg_segment_size: 368
    .language:       OpenCL C
    .language_version:
      - 2
      - 0
    .max_flat_workgroup_size: 1024
    .name:           _ZL10tri_kernelI14__hip_bfloat16Lb1ELi0EEvPKT_PS1_llllllllllll
    .private_segment_fixed_size: 0
    .sgpr_count:     34
    .sgpr_spill_count: 0
    .symbol:         _ZL10tri_kernelI14__hip_bfloat16Lb1ELi0EEvPKT_PS1_llllllllllll.kd
    .uniform_work_group_size: 1
    .uses_dynamic_stack: false
    .vgpr_count:     14
    .vgpr_spill_count: 0
    .wavefront_size: 32
    .workgroup_processor_mode: 1
  - .args:
      - .address_space:  global
        .offset:         0
        .size:           8
        .value_kind:     global_buffer
      - .address_space:  global
        .offset:         8
        .size:           8
        .value_kind:     global_buffer
      - .offset:         16
        .size:           8
        .value_kind:     by_value
      - .offset:         24
        .size:           8
        .value_kind:     by_value
      - .offset:         32
        .size:           8
        .value_kind:     by_value
      - .offset:         40
        .size:           8
        .value_kind:     by_value
      - .offset:         48
        .size:           8
        .value_kind:     by_value
      - .offset:         56
        .size:           8
        .value_kind:     by_value
      - .offset:         64
        .size:           8
        .value_kind:     by_value
      - .offset:         72
        .size:           8
        .value_kind:     by_value
      - .offset:         80
        .size:           8
        .value_kind:     by_value
      - .offset:         88
        .size:           8
        .value_kind:     by_value
      - .offset:         96
        .size:           8
        .value_kind:     by_value
      - .offset:         104
        .size:           8
        .value_kind:     by_value
      - .offset:         112
        .size:           4
        .value_kind:     hidden_block_count_x
      - .offset:         116
        .size:           4
        .value_kind:     hidden_block_count_y
      - .offset:         120
        .size:           4
        .value_kind:     hidden_block_count_z
      - .offset:         124
        .size:           2
        .value_kind:     hidden_group_size_x
      - .offset:         126
        .size:           2
        .value_kind:     hidden_group_size_y
      - .offset:         128
        .size:           2
        .value_kind:     hidden_group_size_z
      - .offset:         130
        .size:           2
        .value_kind:     hidden_remainder_x
      - .offset:         132
        .size:           2
        .value_kind:     hidden_remainder_y
      - .offset:         134
        .size:           2
        .value_kind:     hidden_remainder_z
      - .offset:         152
        .size:           8
        .value_kind:     hidden_global_offset_x
      - .offset:         160
        .size:           8
        .value_kind:     hidden_global_offset_y
      - .offset:         168
        .size:           8
        .value_kind:     hidden_global_offset_z
      - .offset:         176
        .size:           2
        .value_kind:     hidden_grid_dims
    .group_segment_fixed_size: 0
    .kernarg_segment_align: 8
    .kernarg_segment_size: 368
    .language:       OpenCL C
    .language_version:
      - 2
      - 0
    .max_flat_workgroup_size: 1024
    .name:           _ZL10tri_kernelI14__hip_bfloat16Lb1ELi1EEvPKT_PS1_llllllllllll
    .private_segment_fixed_size: 0
    .sgpr_count:     34
    .sgpr_spill_count: 0
    .symbol:         _ZL10tri_kernelI14__hip_bfloat16Lb1ELi1EEvPKT_PS1_llllllllllll.kd
    .uniform_work_group_size: 1
    .uses_dynamic_stack: false
    .vgpr_count:     16
    .vgpr_spill_count: 0
    .wavefront_size: 32
    .workgroup_processor_mode: 1
  - .args:
      - .address_space:  global
        .offset:         0
        .size:           8
        .value_kind:     global_buffer
      - .address_space:  global
        .offset:         8
        .size:           8
        .value_kind:     global_buffer
      - .offset:         16
        .size:           8
        .value_kind:     by_value
      - .offset:         24
        .size:           8
        .value_kind:     by_value
      - .offset:         32
        .size:           8
        .value_kind:     by_value
      - .offset:         40
        .size:           8
        .value_kind:     by_value
      - .offset:         48
        .size:           8
        .value_kind:     by_value
      - .offset:         56
        .size:           8
        .value_kind:     by_value
      - .offset:         64
        .size:           8
        .value_kind:     by_value
      - .offset:         72
        .size:           8
        .value_kind:     by_value
      - .offset:         80
        .size:           8
        .value_kind:     by_value
      - .offset:         88
        .size:           8
        .value_kind:     by_value
      - .offset:         96
        .size:           8
        .value_kind:     by_value
      - .offset:         104
        .size:           8
        .value_kind:     by_value
      - .offset:         112
        .size:           4
        .value_kind:     hidden_block_count_x
      - .offset:         116
        .size:           4
        .value_kind:     hidden_block_count_y
      - .offset:         120
        .size:           4
        .value_kind:     hidden_block_count_z
      - .offset:         124
        .size:           2
        .value_kind:     hidden_group_size_x
      - .offset:         126
        .size:           2
        .value_kind:     hidden_group_size_y
      - .offset:         128
        .size:           2
        .value_kind:     hidden_group_size_z
      - .offset:         130
        .size:           2
        .value_kind:     hidden_remainder_x
      - .offset:         132
        .size:           2
        .value_kind:     hidden_remainder_y
      - .offset:         134
        .size:           2
        .value_kind:     hidden_remainder_z
      - .offset:         152
        .size:           8
        .value_kind:     hidden_global_offset_x
      - .offset:         160
        .size:           8
        .value_kind:     hidden_global_offset_y
      - .offset:         168
        .size:           8
        .value_kind:     hidden_global_offset_z
      - .offset:         176
        .size:           2
        .value_kind:     hidden_grid_dims
    .group_segment_fixed_size: 0
    .kernarg_segment_align: 8
    .kernarg_segment_size: 368
    .language:       OpenCL C
    .language_version:
      - 2
      - 0
    .max_flat_workgroup_size: 1024
    .name:           _ZL10tri_kernelI14__hip_bfloat16Lb0ELi0EEvPKT_PS1_llllllllllll
    .private_segment_fixed_size: 0
    .sgpr_count:     31
    .sgpr_spill_count: 0
    .symbol:         _ZL10tri_kernelI14__hip_bfloat16Lb0ELi0EEvPKT_PS1_llllllllllll.kd
    .uniform_work_group_size: 1
    .uses_dynamic_stack: false
    .vgpr_count:     16
    .vgpr_spill_count: 0
    .wavefront_size: 32
    .workgroup_processor_mode: 1
  - .args:
      - .address_space:  global
        .offset:         0
        .size:           8
        .value_kind:     global_buffer
      - .address_space:  global
        .offset:         8
        .size:           8
        .value_kind:     global_buffer
      - .offset:         16
        .size:           8
        .value_kind:     by_value
      - .offset:         24
        .size:           8
        .value_kind:     by_value
      - .offset:         32
        .size:           8
        .value_kind:     by_value
      - .offset:         40
        .size:           8
        .value_kind:     by_value
      - .offset:         48
        .size:           8
        .value_kind:     by_value
      - .offset:         56
        .size:           8
        .value_kind:     by_value
      - .offset:         64
        .size:           8
        .value_kind:     by_value
      - .offset:         72
        .size:           8
        .value_kind:     by_value
      - .offset:         80
        .size:           8
        .value_kind:     by_value
      - .offset:         88
        .size:           8
        .value_kind:     by_value
      - .offset:         96
        .size:           8
        .value_kind:     by_value
      - .offset:         104
        .size:           8
        .value_kind:     by_value
      - .offset:         112
        .size:           4
        .value_kind:     hidden_block_count_x
      - .offset:         116
        .size:           4
        .value_kind:     hidden_block_count_y
      - .offset:         120
        .size:           4
        .value_kind:     hidden_block_count_z
      - .offset:         124
        .size:           2
        .value_kind:     hidden_group_size_x
      - .offset:         126
        .size:           2
        .value_kind:     hidden_group_size_y
      - .offset:         128
        .size:           2
        .value_kind:     hidden_group_size_z
      - .offset:         130
        .size:           2
        .value_kind:     hidden_remainder_x
      - .offset:         132
        .size:           2
        .value_kind:     hidden_remainder_y
      - .offset:         134
        .size:           2
        .value_kind:     hidden_remainder_z
      - .offset:         152
        .size:           8
        .value_kind:     hidden_global_offset_x
      - .offset:         160
        .size:           8
        .value_kind:     hidden_global_offset_y
      - .offset:         168
        .size:           8
        .value_kind:     hidden_global_offset_z
      - .offset:         176
        .size:           2
        .value_kind:     hidden_grid_dims
    .group_segment_fixed_size: 0
    .kernarg_segment_align: 8
    .kernarg_segment_size: 368
    .language:       OpenCL C
    .language_version:
      - 2
      - 0
    .max_flat_workgroup_size: 1024
    .name:           _ZL10tri_kernelI14__hip_bfloat16Lb0ELi1EEvPKT_PS1_llllllllllll
    .private_segment_fixed_size: 0
    .sgpr_count:     33
    .sgpr_spill_count: 0
    .symbol:         _ZL10tri_kernelI14__hip_bfloat16Lb0ELi1EEvPKT_PS1_llllllllllll.kd
    .uniform_work_group_size: 1
    .uses_dynamic_stack: false
    .vgpr_count:     16
    .vgpr_spill_count: 0
    .wavefront_size: 32
    .workgroup_processor_mode: 1
amdhsa.target:   amdgcn-amd-amdhsa--gfx1100
amdhsa.version:
  - 1
  - 2
...

	.end_amdgpu_metadata
